;; amdgpu-corpus repo=ROCm/MIOpen kind=compiled arch=gfx1100 opt=O3
	.text
	.amdgcn_target "amdgcn-amd-amdhsa--gfx1100"
	.amdhsa_code_object_version 6
	.protected	check_numerics_fp32     ; -- Begin function check_numerics_fp32
	.globl	check_numerics_fp32
	.p2align	8
	.type	check_numerics_fp32,@function
check_numerics_fp32:                    ; @check_numerics_fp32
; %bb.0:
	s_load_b32 s2, s[0:1], 0x20
	s_add_u32 s3, s0, 32
	s_addc_u32 s5, s1, 0
	v_mov_b32_e32 v6, 0
	v_mov_b32_e32 v4, 0x800000
	s_mov_b32 s8, 0
	s_waitcnt lgkmcnt(0)
	s_cmp_lt_u32 s15, s2
	s_cselect_b32 s4, 12, 18
	s_delay_alu instid0(SALU_CYCLE_1)
	s_add_u32 s4, s3, s4
	s_addc_u32 s5, s5, 0
	s_mov_b32 s3, exec_lo
	global_load_u16 v1, v6, s[4:5]
	s_load_b128 s[4:7], s[0:1], 0x8
	s_waitcnt vmcnt(0)
	v_mad_u64_u32 v[2:3], null, s15, v1, v[0:1]
	v_mov_b32_e32 v3, 0x7f7fffff
	s_delay_alu instid0(VALU_DEP_2) | instskip(SKIP_2) | instid1(VALU_DEP_2)
	v_mov_b32_e32 v5, v2
	v_mov_b32_e32 v2, v6
	s_waitcnt lgkmcnt(0)
	v_cmpx_gt_u64_e64 s[4:5], v[5:6]
	s_cbranch_execz .LBB0_10
; %bb.1:
	s_load_b64 s[10:11], s[0:1], 0x0
	v_mul_lo_u32 v7, s2, v1
	v_lshlrev_b64 v[10:11], 2, v[5:6]
	v_dual_mov_b32 v8, v6 :: v_dual_mov_b32 v3, 0x7f7fffff
	v_dual_mov_b32 v4, 0x800000 :: v_dual_mov_b32 v1, 1
	v_mov_b32_e32 v14, v6
	v_mov_b32_e32 v2, v6
	s_delay_alu instid0(VALU_DEP_4)
	v_lshlrev_b64 v[8:9], 2, v[7:8]
	v_dual_mov_b32 v13, v6 :: v_dual_mov_b32 v12, v5
	s_waitcnt lgkmcnt(0)
	v_add_co_u32 v10, vcc_lo, s10, v10
	v_add_co_ci_u32_e32 v11, vcc_lo, s11, v11, vcc_lo
	s_set_inst_prefetch_distance 0x1
	s_branch .LBB0_3
	.p2align	6
.LBB0_2:                                ;   in Loop: Header=BB0_3 Depth=1
	s_or_b32 exec_lo, exec_lo, s2
	v_add_co_u32 v12, vcc_lo, v12, v7
	v_add_co_ci_u32_e32 v13, vcc_lo, 0, v13, vcc_lo
	v_dual_max_f32 v3, v3, v3 :: v_dual_max_f32 v4, v4, v4
	v_max_f32_e32 v15, v5, v5
	s_delay_alu instid0(VALU_DEP_3) | instskip(SKIP_1) | instid1(VALU_DEP_3)
	v_cmp_le_u64_e32 vcc_lo, s[4:5], v[12:13]
	v_add_co_u32 v10, s2, v10, v8
	v_dual_add_f32 v14, v14, v5 :: v_dual_min_f32 v3, v3, v15
	v_add_f32_e64 v2, v2, |v5|
	v_max_f32_e32 v4, v4, v15
	v_add_co_ci_u32_e64 v11, s2, v11, v9, s2
	s_or_b32 s8, vcc_lo, s8
	s_delay_alu instid0(SALU_CYCLE_1)
	s_and_not1_b32 exec_lo, exec_lo, s8
	s_cbranch_execz .LBB0_9
.LBB0_3:                                ; =>This Inner Loop Header: Depth=1
	global_load_b32 v5, v[10:11], off
	s_mov_b32 s2, exec_lo
	s_waitcnt vmcnt(0)
	v_cmpx_eq_f32_e32 0, v5
	s_cbranch_execz .LBB0_5
; %bb.4:                                ;   in Loop: Header=BB0_3 Depth=1
	global_store_b32 v6, v1, s[6:7] offset:16
.LBB0_5:                                ;   in Loop: Header=BB0_3 Depth=1
	s_or_b32 exec_lo, exec_lo, s2
	s_delay_alu instid0(SALU_CYCLE_1)
	s_mov_b32 s2, exec_lo
	v_cmpx_u_f32_e32 v5, v5
	s_cbranch_execz .LBB0_7
; %bb.6:                                ;   in Loop: Header=BB0_3 Depth=1
	global_store_b32 v6, v1, s[6:7] offset:20
.LBB0_7:                                ;   in Loop: Header=BB0_3 Depth=1
	s_or_b32 exec_lo, exec_lo, s2
	v_cmp_class_f32_e64 s9, v5, 0x204
	s_delay_alu instid0(VALU_DEP_1)
	s_and_saveexec_b32 s2, s9
	s_cbranch_execz .LBB0_2
; %bb.8:                                ;   in Loop: Header=BB0_3 Depth=1
	global_store_b32 v6, v1, s[6:7] offset:24
	s_branch .LBB0_2
.LBB0_9:
	s_set_inst_prefetch_distance 0x2
	s_or_b32 exec_lo, exec_lo, s8
	v_mov_b32_e32 v6, v14
.LBB0_10:
	s_or_b32 exec_lo, exec_lo, s3
	s_load_b32 s0, s[0:1], 0x18
	s_waitcnt lgkmcnt(0)
	s_bitcmp1_b32 s0, 0
	s_cselect_b32 s0, -1, 0
	s_delay_alu instid0(SALU_CYCLE_1)
	s_and_b32 vcc_lo, exec_lo, s0
	s_cbranch_vccz .LBB0_42
; %bb.11:
	v_lshlrev_b32_e32 v5, 4, v0
	v_mov_b32_e32 v1, v6
	s_mov_b32 s0, exec_lo
	ds_store_b128 v5, v[1:4]
	s_waitcnt lgkmcnt(0)
	s_waitcnt_vscnt null, 0x0
	s_barrier
	buffer_gl0_inv
	v_cmpx_gt_u32_e32 0x80, v0
	s_cbranch_execz .LBB0_13
; %bb.12:
	ds_load_b128 v[1:4], v5 offset:2048
	ds_load_b128 v[6:9], v5
	s_waitcnt lgkmcnt(0)
	v_dual_max_f32 v3, v3, v3 :: v_dual_max_f32 v8, v8, v8
	v_dual_max_f32 v4, v4, v4 :: v_dual_max_f32 v9, v9, v9
	v_dual_add_f32 v1, v1, v6 :: v_dual_add_f32 v2, v2, v7
	s_delay_alu instid0(VALU_DEP_2)
	v_dual_min_f32 v3, v8, v3 :: v_dual_max_f32 v4, v9, v4
	ds_store_b128 v5, v[1:4]
.LBB0_13:
	s_or_b32 exec_lo, exec_lo, s0
	s_delay_alu instid0(SALU_CYCLE_1)
	s_mov_b32 s0, exec_lo
	s_waitcnt lgkmcnt(0)
	s_barrier
	buffer_gl0_inv
	v_cmpx_gt_u32_e32 64, v0
	s_cbranch_execz .LBB0_15
; %bb.14:
	ds_load_b128 v[1:4], v5 offset:1024
	ds_load_b128 v[6:9], v5
	s_waitcnt lgkmcnt(0)
	v_dual_max_f32 v3, v3, v3 :: v_dual_max_f32 v8, v8, v8
	v_dual_max_f32 v4, v4, v4 :: v_dual_max_f32 v9, v9, v9
	v_dual_add_f32 v1, v1, v6 :: v_dual_add_f32 v2, v2, v7
	s_delay_alu instid0(VALU_DEP_2)
	v_dual_min_f32 v3, v8, v3 :: v_dual_max_f32 v4, v9, v4
	ds_store_b128 v5, v[1:4]
.LBB0_15:
	s_or_b32 exec_lo, exec_lo, s0
	s_delay_alu instid0(SALU_CYCLE_1)
	s_mov_b32 s0, exec_lo
	s_waitcnt lgkmcnt(0)
	;; [unrolled: 19-line block ×6, first 2 shown]
	s_barrier
	buffer_gl0_inv
	v_cmpx_gt_u32_e32 2, v0
	s_cbranch_execz .LBB0_25
; %bb.24:
	ds_load_b128 v[1:4], v5 offset:32
	ds_load_b128 v[6:9], v5
	s_waitcnt lgkmcnt(0)
	v_dual_max_f32 v3, v3, v3 :: v_dual_max_f32 v8, v8, v8
	v_dual_max_f32 v4, v4, v4 :: v_dual_max_f32 v9, v9, v9
	v_dual_add_f32 v1, v1, v6 :: v_dual_add_f32 v2, v2, v7
	s_delay_alu instid0(VALU_DEP_2)
	v_dual_min_f32 v3, v8, v3 :: v_dual_max_f32 v4, v9, v4
	ds_store_b128 v5, v[1:4]
.LBB0_25:
	s_or_b32 exec_lo, exec_lo, s0
	v_cmp_eq_u32_e32 vcc_lo, 0, v0
	s_waitcnt lgkmcnt(0)
	s_barrier
	buffer_gl0_inv
	s_and_saveexec_b32 s0, vcc_lo
	s_cbranch_execz .LBB0_27
; %bb.26:
	ds_load_b128 v[0:3], v5 offset:16
	ds_load_b128 v[6:9], v5
	s_waitcnt lgkmcnt(1)
	v_dual_max_f32 v2, v2, v2 :: v_dual_max_f32 v3, v3, v3
	s_waitcnt lgkmcnt(0)
	v_dual_max_f32 v4, v8, v8 :: v_dual_add_f32 v1, v1, v7
	v_max_f32_e32 v8, v9, v9
	v_add_f32_e32 v0, v0, v6
	s_delay_alu instid0(VALU_DEP_3) | instskip(NEXT) | instid1(VALU_DEP_3)
	v_min_f32_e32 v2, v4, v2
	v_max_f32_e32 v3, v8, v3
	ds_store_b128 v5, v[0:3]
.LBB0_27:
	s_or_b32 exec_lo, exec_lo, s0
	s_waitcnt lgkmcnt(0)
	s_barrier
	buffer_gl0_inv
	s_and_saveexec_b32 s0, vcc_lo
	s_cbranch_execz .LBB0_42
; %bb.28:
	s_mov_b32 s2, exec_lo
	s_mov_b32 s1, 0
	v_mbcnt_lo_u32_b32 v0, s2, 0
	s_mov_b32 s0, exec_lo
	s_delay_alu instid0(VALU_DEP_1)
	v_cmpx_eq_u32_e32 0, v0
	s_cbranch_execz .LBB0_31
; %bb.29:
	s_bcnt1_i32_b32 s2, s2
	s_load_b32 s3, s[6:7], 0x0
	v_cvt_f32_ubyte0_e32 v1, s2
	v_mov_b32_e32 v2, 0
	ds_load_b32 v0, v2
	s_waitcnt lgkmcnt(0)
	v_mul_f32_e32 v3, v0, v1
	v_mov_b32_e32 v1, s3
.LBB0_30:                               ; =>This Inner Loop Header: Depth=1
	s_delay_alu instid0(VALU_DEP_1)
	v_add_f32_e32 v0, v1, v3
	global_atomic_cmpswap_b32 v0, v2, v[0:1], s[6:7] glc
	s_waitcnt vmcnt(0)
	v_cmp_eq_u32_e32 vcc_lo, v0, v1
	v_mov_b32_e32 v1, v0
	s_or_b32 s1, vcc_lo, s1
	s_delay_alu instid0(SALU_CYCLE_1)
	s_and_not1_b32 exec_lo, exec_lo, s1
	s_cbranch_execnz .LBB0_30
.LBB0_31:
	s_or_b32 exec_lo, exec_lo, s0
	s_delay_alu instid0(SALU_CYCLE_1) | instskip(SKIP_3) | instid1(VALU_DEP_1)
	s_mov_b32 s2, exec_lo
	s_mov_b32 s1, 0
	v_mbcnt_lo_u32_b32 v0, s2, 0
	s_mov_b32 s0, exec_lo
	v_cmpx_eq_u32_e32 0, v0
	s_cbranch_execz .LBB0_34
; %bb.32:
	s_bcnt1_i32_b32 s2, s2
	s_load_b32 s3, s[6:7], 0x4
	v_cvt_f32_ubyte0_e32 v1, s2
	v_mov_b32_e32 v2, 0
	ds_load_b32 v0, v2 offset:4
	s_waitcnt lgkmcnt(0)
	v_mul_f32_e32 v3, v0, v1
	v_mov_b32_e32 v1, s3
.LBB0_33:                               ; =>This Inner Loop Header: Depth=1
	s_delay_alu instid0(VALU_DEP_1)
	v_add_f32_e32 v0, v1, v3
	global_atomic_cmpswap_b32 v0, v2, v[0:1], s[6:7] offset:4 glc
	s_waitcnt vmcnt(0)
	v_cmp_eq_u32_e32 vcc_lo, v0, v1
	v_mov_b32_e32 v1, v0
	s_or_b32 s1, vcc_lo, s1
	s_delay_alu instid0(SALU_CYCLE_1)
	s_and_not1_b32 exec_lo, exec_lo, s1
	s_cbranch_execnz .LBB0_33
.LBB0_34:
	s_or_b32 exec_lo, exec_lo, s0
	v_mov_b32_e32 v2, 0
	s_mov_b32 s1, 0
                                        ; implicit-def: $sgpr3
	ds_load_b32 v0, v2 offset:8
	global_load_b32 v1, v2, s[6:7] offset:8 glc
	s_waitcnt lgkmcnt(0)
	v_readfirstlane_b32 s0, v0
	s_delay_alu instid0(VALU_DEP_1)
	s_cmp_eq_u32 s0, 0x80000000
	s_cselect_b32 s2, -1, 0
	s_branch .LBB0_36
	.p2align	6
.LBB0_35:                               ;   in Loop: Header=BB0_36 Depth=1
	s_or_b32 exec_lo, exec_lo, s0
	s_delay_alu instid0(SALU_CYCLE_1) | instskip(NEXT) | instid1(SALU_CYCLE_1)
	s_and_b32 s0, exec_lo, s3
	s_or_b32 s1, s0, s1
	s_delay_alu instid0(SALU_CYCLE_1)
	s_and_not1_b32 exec_lo, exec_lo, s1
	s_cbranch_execz .LBB0_38
.LBB0_36:                               ; =>This Inner Loop Header: Depth=1
	s_waitcnt vmcnt(0)
	v_cmp_eq_f32_e32 vcc_lo, 0, v1
	v_cmp_lt_f32_e64 s0, v0, v1
	s_or_b32 s3, s3, exec_lo
	s_and_b32 s4, s2, vcc_lo
	s_delay_alu instid0(VALU_DEP_1) | instid1(SALU_CYCLE_1)
	s_or_b32 s4, s0, s4
	s_delay_alu instid0(SALU_CYCLE_1)
	s_and_saveexec_b32 s0, s4
	s_cbranch_execz .LBB0_35
; %bb.37:                               ;   in Loop: Header=BB0_36 Depth=1
	global_atomic_cmpswap_b32 v3, v2, v[0:1], s[6:7] offset:8 glc
	s_and_not1_b32 s3, s3, exec_lo
	s_waitcnt vmcnt(0)
	v_cmp_eq_u32_e32 vcc_lo, v3, v1
	v_mov_b32_e32 v1, v3
	s_and_b32 s4, vcc_lo, exec_lo
	s_delay_alu instid0(SALU_CYCLE_1)
	s_or_b32 s3, s3, s4
	s_branch .LBB0_35
.LBB0_38:
	s_or_b32 exec_lo, exec_lo, s1
	v_mov_b32_e32 v2, 0
	s_mov_b32 s1, 0
                                        ; implicit-def: $sgpr2
                                        ; implicit-def: $sgpr3
	ds_load_b32 v0, v2 offset:12
	global_load_b32 v1, v2, s[6:7] offset:12 glc
	s_waitcnt lgkmcnt(0)
	v_cmp_eq_f32_e32 vcc_lo, 0, v0
	s_waitcnt vmcnt(0)
	v_cmp_eq_u32_e64 s4, 0x80000000, v1
	s_set_inst_prefetch_distance 0x1
	s_branch .LBB0_40
	.p2align	6
.LBB0_39:                               ;   in Loop: Header=BB0_40 Depth=1
	s_or_b32 exec_lo, exec_lo, s5
	s_delay_alu instid0(SALU_CYCLE_1) | instskip(NEXT) | instid1(SALU_CYCLE_1)
	s_and_b32 s0, exec_lo, s2
	s_or_b32 s1, s0, s1
	s_and_not1_b32 s0, s4, exec_lo
	s_and_b32 s4, s3, exec_lo
	s_delay_alu instid0(SALU_CYCLE_1)
	s_or_b32 s4, s0, s4
	s_and_not1_b32 exec_lo, exec_lo, s1
	s_cbranch_execz .LBB0_42
.LBB0_40:                               ; =>This Inner Loop Header: Depth=1
	v_cmp_lt_f32_e64 s0, v1, v0
	s_delay_alu instid0(VALU_DEP_2) | instskip(SKIP_2) | instid1(VALU_DEP_1)
	s_and_b32 s5, vcc_lo, s4
	s_and_not1_b32 s3, s3, exec_lo
	s_or_b32 s2, s2, exec_lo
	s_or_b32 s0, s0, s5
	s_delay_alu instid0(SALU_CYCLE_1)
	s_and_saveexec_b32 s5, s0
	s_cbranch_execz .LBB0_39
; %bb.41:                               ;   in Loop: Header=BB0_40 Depth=1
	global_atomic_cmpswap_b32 v3, v2, v[0:1], s[6:7] offset:12 glc
	s_and_not1_b32 s3, s3, exec_lo
	s_and_not1_b32 s2, s2, exec_lo
	s_waitcnt vmcnt(0)
	v_cmp_eq_u32_e64 s0, v3, v1
	s_delay_alu instid0(VALU_DEP_1) | instskip(SKIP_1) | instid1(SALU_CYCLE_1)
	v_cndmask_b32_e64 v1, v3, v1, s0
	s_and_b32 s0, s0, exec_lo
	s_or_b32 s2, s2, s0
	s_delay_alu instid0(VALU_DEP_1) | instskip(SKIP_1) | instid1(VALU_DEP_2)
	v_cmp_class_f32_e64 s4, v1, 32
	v_mov_b32_e32 v1, v3
	s_and_b32 s4, s4, exec_lo
	s_delay_alu instid0(SALU_CYCLE_1)
	s_or_b32 s3, s3, s4
                                        ; implicit-def: $sgpr4
	s_branch .LBB0_39
.LBB0_42:
	s_set_inst_prefetch_distance 0x2
	s_nop 0
	s_sendmsg sendmsg(MSG_DEALLOC_VGPRS)
	s_endpgm
	.section	.rodata,"a",@progbits
	.p2align	6, 0x0
	.amdhsa_kernel check_numerics_fp32
		.amdhsa_group_segment_fixed_size 4096
		.amdhsa_private_segment_fixed_size 0
		.amdhsa_kernarg_size 288
		.amdhsa_user_sgpr_count 15
		.amdhsa_user_sgpr_dispatch_ptr 0
		.amdhsa_user_sgpr_queue_ptr 0
		.amdhsa_user_sgpr_kernarg_segment_ptr 1
		.amdhsa_user_sgpr_dispatch_id 0
		.amdhsa_user_sgpr_private_segment_size 0
		.amdhsa_wavefront_size32 1
		.amdhsa_uses_dynamic_stack 0
		.amdhsa_enable_private_segment 0
		.amdhsa_system_sgpr_workgroup_id_x 1
		.amdhsa_system_sgpr_workgroup_id_y 0
		.amdhsa_system_sgpr_workgroup_id_z 0
		.amdhsa_system_sgpr_workgroup_info 0
		.amdhsa_system_vgpr_workitem_id 0
		.amdhsa_next_free_vgpr 16
		.amdhsa_next_free_sgpr 16
		.amdhsa_reserve_vcc 1
		.amdhsa_float_round_mode_32 0
		.amdhsa_float_round_mode_16_64 0
		.amdhsa_float_denorm_mode_32 3
		.amdhsa_float_denorm_mode_16_64 3
		.amdhsa_dx10_clamp 1
		.amdhsa_ieee_mode 1
		.amdhsa_fp16_overflow 0
		.amdhsa_workgroup_processor_mode 1
		.amdhsa_memory_ordered 1
		.amdhsa_forward_progress 0
		.amdhsa_shared_vgpr_count 0
		.amdhsa_exception_fp_ieee_invalid_op 0
		.amdhsa_exception_fp_denorm_src 0
		.amdhsa_exception_fp_ieee_div_zero 0
		.amdhsa_exception_fp_ieee_overflow 0
		.amdhsa_exception_fp_ieee_underflow 0
		.amdhsa_exception_fp_ieee_inexact 0
		.amdhsa_exception_int_div_zero 0
	.end_amdhsa_kernel
	.text
.Lfunc_end0:
	.size	check_numerics_fp32, .Lfunc_end0-check_numerics_fp32
                                        ; -- End function
	.section	.AMDGPU.csdata,"",@progbits
; Kernel info:
; codeLenInByte = 1944
; NumSgprs: 18
; NumVgprs: 16
; ScratchSize: 0
; MemoryBound: 0
; FloatMode: 240
; IeeeMode: 1
; LDSByteSize: 4096 bytes/workgroup (compile time only)
; SGPRBlocks: 2
; VGPRBlocks: 1
; NumSGPRsForWavesPerEU: 18
; NumVGPRsForWavesPerEU: 16
; Occupancy: 16
; WaveLimiterHint : 0
; COMPUTE_PGM_RSRC2:SCRATCH_EN: 0
; COMPUTE_PGM_RSRC2:USER_SGPR: 15
; COMPUTE_PGM_RSRC2:TRAP_HANDLER: 0
; COMPUTE_PGM_RSRC2:TGID_X_EN: 1
; COMPUTE_PGM_RSRC2:TGID_Y_EN: 0
; COMPUTE_PGM_RSRC2:TGID_Z_EN: 0
; COMPUTE_PGM_RSRC2:TIDIG_COMP_CNT: 0
	.text
	.protected	check_numerics_fp16     ; -- Begin function check_numerics_fp16
	.globl	check_numerics_fp16
	.p2align	8
	.type	check_numerics_fp16,@function
check_numerics_fp16:                    ; @check_numerics_fp16
; %bb.0:
	s_load_b32 s2, s[0:1], 0x20
	s_add_u32 s3, s0, 32
	s_addc_u32 s5, s1, 0
	v_mov_b32_e32 v6, 0
	s_waitcnt lgkmcnt(0)
	s_cmp_lt_u32 s15, s2
	s_cselect_b32 s4, 12, 18
	s_delay_alu instid0(SALU_CYCLE_1)
	s_add_u32 s4, s3, s4
	s_addc_u32 s5, s5, 0
	s_mov_b32 s3, exec_lo
	global_load_u16 v1, v6, s[4:5]
	s_load_b128 s[4:7], s[0:1], 0x8
	s_waitcnt vmcnt(0)
	v_mad_u64_u32 v[2:3], null, s15, v1, v[0:1]
	s_delay_alu instid0(VALU_DEP_1)
	v_mov_b32_e32 v5, v2
	v_mov_b32_e32 v2, v6
	;; [unrolled: 1-line block ×4, first 2 shown]
	s_waitcnt lgkmcnt(0)
	v_cmpx_gt_u64_e64 s[4:5], v[5:6]
	s_cbranch_execz .LBB1_10
; %bb.1:
	s_load_b64 s[8:9], s[0:1], 0x0
	v_mul_lo_u32 v3, s2, v1
	v_lshlrev_b64 v[9:10], 1, v[5:6]
	v_dual_mov_b32 v4, v6 :: v_dual_mov_b32 v11, 1
	v_mov_b32_e32 v8, v6
	v_dual_mov_b32 v2, v6 :: v_dual_mov_b32 v7, v5
	v_mov_b32_e32 v1, v6
	s_delay_alu instid0(VALU_DEP_4)
	v_lshlrev_b64 v[4:5], 1, v[3:4]
	v_mov_b32_e32 v12, v6
	v_mov_b32_e32 v13, v6
	s_waitcnt lgkmcnt(0)
	v_add_co_u32 v9, vcc_lo, s8, v9
	v_add_co_ci_u32_e32 v10, vcc_lo, s9, v10, vcc_lo
	s_mov_b32 s8, 0
	s_set_inst_prefetch_distance 0x1
	s_branch .LBB1_3
	.p2align	6
.LBB1_2:                                ;   in Loop: Header=BB1_3 Depth=1
	s_or_b32 exec_lo, exec_lo, s2
	v_add_co_u32 v7, vcc_lo, v7, v3
	v_add_co_ci_u32_e32 v8, vcc_lo, 0, v8, vcc_lo
	v_cmp_lt_f16_e32 vcc_lo, v12, v14
	v_add_f32_e32 v1, v1, v15
	v_add_co_u32 v9, s2, v9, v4
	v_add_f32_e64 v2, v2, |v15|
	v_cndmask_b32_e32 v12, v14, v12, vcc_lo
	v_cmp_gt_f16_e32 vcc_lo, v13, v14
	v_add_co_ci_u32_e64 v10, s2, v10, v5, s2
	v_cndmask_b32_e32 v13, v14, v13, vcc_lo
	v_cmp_le_u64_e32 vcc_lo, s[4:5], v[7:8]
	s_or_b32 s8, vcc_lo, s8
	s_delay_alu instid0(SALU_CYCLE_1)
	s_and_not1_b32 exec_lo, exec_lo, s8
	s_cbranch_execz .LBB1_9
.LBB1_3:                                ; =>This Inner Loop Header: Depth=1
	global_load_u16 v14, v[9:10], off
	s_mov_b32 s2, exec_lo
	s_waitcnt vmcnt(0)
	v_cmpx_eq_f16_e32 0, v14
	s_cbranch_execz .LBB1_5
; %bb.4:                                ;   in Loop: Header=BB1_3 Depth=1
	global_store_b32 v6, v11, s[6:7] offset:16
.LBB1_5:                                ;   in Loop: Header=BB1_3 Depth=1
	s_or_b32 exec_lo, exec_lo, s2
	s_delay_alu instid0(SALU_CYCLE_1)
	s_mov_b32 s2, exec_lo
	v_cmpx_u_f16_e32 v14, v14
	s_cbranch_execz .LBB1_7
; %bb.6:                                ;   in Loop: Header=BB1_3 Depth=1
	global_store_b32 v6, v11, s[6:7] offset:20
.LBB1_7:                                ;   in Loop: Header=BB1_3 Depth=1
	s_or_b32 exec_lo, exec_lo, s2
	v_cvt_f32_f16_e32 v15, v14
	s_delay_alu instid0(VALU_DEP_1) | instskip(NEXT) | instid1(VALU_DEP_1)
	v_cmp_class_f32_e64 s9, v15, 0x204
	s_and_saveexec_b32 s2, s9
	s_cbranch_execz .LBB1_2
; %bb.8:                                ;   in Loop: Header=BB1_3 Depth=1
	global_store_b32 v6, v11, s[6:7] offset:24
	s_branch .LBB1_2
.LBB1_9:
	s_set_inst_prefetch_distance 0x2
	s_or_b32 exec_lo, exec_lo, s8
	v_cvt_f32_f16_e32 v3, v12
	v_cvt_f32_f16_e32 v4, v13
	v_mov_b32_e32 v6, v1
.LBB1_10:
	s_or_b32 exec_lo, exec_lo, s3
	s_load_b32 s0, s[0:1], 0x18
	s_waitcnt lgkmcnt(0)
	s_bitcmp1_b32 s0, 0
	s_cselect_b32 s0, -1, 0
	s_delay_alu instid0(SALU_CYCLE_1)
	s_and_b32 vcc_lo, exec_lo, s0
	s_cbranch_vccz .LBB1_42
; %bb.11:
	v_lshlrev_b32_e32 v5, 4, v0
	v_mov_b32_e32 v1, v6
	s_mov_b32 s0, exec_lo
	ds_store_b128 v5, v[1:4]
	s_waitcnt lgkmcnt(0)
	s_waitcnt_vscnt null, 0x0
	s_barrier
	buffer_gl0_inv
	v_cmpx_gt_u32_e32 0x80, v0
	s_cbranch_execz .LBB1_13
; %bb.12:
	ds_load_b128 v[1:4], v5 offset:2048
	ds_load_b128 v[6:9], v5
	s_waitcnt lgkmcnt(0)
	v_dual_max_f32 v3, v3, v3 :: v_dual_max_f32 v8, v8, v8
	v_dual_max_f32 v4, v4, v4 :: v_dual_max_f32 v9, v9, v9
	v_dual_add_f32 v1, v1, v6 :: v_dual_add_f32 v2, v2, v7
	s_delay_alu instid0(VALU_DEP_2)
	v_dual_min_f32 v3, v8, v3 :: v_dual_max_f32 v4, v9, v4
	ds_store_b128 v5, v[1:4]
.LBB1_13:
	s_or_b32 exec_lo, exec_lo, s0
	s_delay_alu instid0(SALU_CYCLE_1)
	s_mov_b32 s0, exec_lo
	s_waitcnt lgkmcnt(0)
	s_barrier
	buffer_gl0_inv
	v_cmpx_gt_u32_e32 64, v0
	s_cbranch_execz .LBB1_15
; %bb.14:
	ds_load_b128 v[1:4], v5 offset:1024
	ds_load_b128 v[6:9], v5
	s_waitcnt lgkmcnt(0)
	v_dual_max_f32 v3, v3, v3 :: v_dual_max_f32 v8, v8, v8
	v_dual_max_f32 v4, v4, v4 :: v_dual_max_f32 v9, v9, v9
	v_dual_add_f32 v1, v1, v6 :: v_dual_add_f32 v2, v2, v7
	s_delay_alu instid0(VALU_DEP_2)
	v_dual_min_f32 v3, v8, v3 :: v_dual_max_f32 v4, v9, v4
	ds_store_b128 v5, v[1:4]
.LBB1_15:
	s_or_b32 exec_lo, exec_lo, s0
	s_delay_alu instid0(SALU_CYCLE_1)
	s_mov_b32 s0, exec_lo
	s_waitcnt lgkmcnt(0)
	;; [unrolled: 19-line block ×6, first 2 shown]
	s_barrier
	buffer_gl0_inv
	v_cmpx_gt_u32_e32 2, v0
	s_cbranch_execz .LBB1_25
; %bb.24:
	ds_load_b128 v[1:4], v5 offset:32
	ds_load_b128 v[6:9], v5
	s_waitcnt lgkmcnt(0)
	v_dual_max_f32 v3, v3, v3 :: v_dual_max_f32 v8, v8, v8
	v_dual_max_f32 v4, v4, v4 :: v_dual_max_f32 v9, v9, v9
	v_dual_add_f32 v1, v1, v6 :: v_dual_add_f32 v2, v2, v7
	s_delay_alu instid0(VALU_DEP_2)
	v_dual_min_f32 v3, v8, v3 :: v_dual_max_f32 v4, v9, v4
	ds_store_b128 v5, v[1:4]
.LBB1_25:
	s_or_b32 exec_lo, exec_lo, s0
	v_cmp_eq_u32_e32 vcc_lo, 0, v0
	s_waitcnt lgkmcnt(0)
	s_barrier
	buffer_gl0_inv
	s_and_saveexec_b32 s0, vcc_lo
	s_cbranch_execz .LBB1_27
; %bb.26:
	ds_load_b128 v[0:3], v5 offset:16
	ds_load_b128 v[6:9], v5
	s_waitcnt lgkmcnt(1)
	v_dual_max_f32 v2, v2, v2 :: v_dual_max_f32 v3, v3, v3
	s_waitcnt lgkmcnt(0)
	v_dual_max_f32 v4, v8, v8 :: v_dual_add_f32 v1, v1, v7
	v_max_f32_e32 v8, v9, v9
	v_add_f32_e32 v0, v0, v6
	s_delay_alu instid0(VALU_DEP_3) | instskip(NEXT) | instid1(VALU_DEP_3)
	v_min_f32_e32 v2, v4, v2
	v_max_f32_e32 v3, v8, v3
	ds_store_b128 v5, v[0:3]
.LBB1_27:
	s_or_b32 exec_lo, exec_lo, s0
	s_waitcnt lgkmcnt(0)
	s_barrier
	buffer_gl0_inv
	s_and_saveexec_b32 s0, vcc_lo
	s_cbranch_execz .LBB1_42
; %bb.28:
	s_mov_b32 s2, exec_lo
	s_mov_b32 s1, 0
	v_mbcnt_lo_u32_b32 v0, s2, 0
	s_mov_b32 s0, exec_lo
	s_delay_alu instid0(VALU_DEP_1)
	v_cmpx_eq_u32_e32 0, v0
	s_cbranch_execz .LBB1_31
; %bb.29:
	s_bcnt1_i32_b32 s2, s2
	s_load_b32 s3, s[6:7], 0x0
	v_cvt_f32_ubyte0_e32 v1, s2
	v_mov_b32_e32 v2, 0
	ds_load_b32 v0, v2
	s_waitcnt lgkmcnt(0)
	v_mul_f32_e32 v3, v0, v1
	v_mov_b32_e32 v1, s3
.LBB1_30:                               ; =>This Inner Loop Header: Depth=1
	s_delay_alu instid0(VALU_DEP_1)
	v_add_f32_e32 v0, v1, v3
	global_atomic_cmpswap_b32 v0, v2, v[0:1], s[6:7] glc
	s_waitcnt vmcnt(0)
	v_cmp_eq_u32_e32 vcc_lo, v0, v1
	v_mov_b32_e32 v1, v0
	s_or_b32 s1, vcc_lo, s1
	s_delay_alu instid0(SALU_CYCLE_1)
	s_and_not1_b32 exec_lo, exec_lo, s1
	s_cbranch_execnz .LBB1_30
.LBB1_31:
	s_or_b32 exec_lo, exec_lo, s0
	s_delay_alu instid0(SALU_CYCLE_1) | instskip(SKIP_3) | instid1(VALU_DEP_1)
	s_mov_b32 s2, exec_lo
	s_mov_b32 s1, 0
	v_mbcnt_lo_u32_b32 v0, s2, 0
	s_mov_b32 s0, exec_lo
	v_cmpx_eq_u32_e32 0, v0
	s_cbranch_execz .LBB1_34
; %bb.32:
	s_bcnt1_i32_b32 s2, s2
	s_load_b32 s3, s[6:7], 0x4
	v_cvt_f32_ubyte0_e32 v1, s2
	v_mov_b32_e32 v2, 0
	ds_load_b32 v0, v2 offset:4
	s_waitcnt lgkmcnt(0)
	v_mul_f32_e32 v3, v0, v1
	v_mov_b32_e32 v1, s3
.LBB1_33:                               ; =>This Inner Loop Header: Depth=1
	s_delay_alu instid0(VALU_DEP_1)
	v_add_f32_e32 v0, v1, v3
	global_atomic_cmpswap_b32 v0, v2, v[0:1], s[6:7] offset:4 glc
	s_waitcnt vmcnt(0)
	v_cmp_eq_u32_e32 vcc_lo, v0, v1
	v_mov_b32_e32 v1, v0
	s_or_b32 s1, vcc_lo, s1
	s_delay_alu instid0(SALU_CYCLE_1)
	s_and_not1_b32 exec_lo, exec_lo, s1
	s_cbranch_execnz .LBB1_33
.LBB1_34:
	s_or_b32 exec_lo, exec_lo, s0
	v_mov_b32_e32 v2, 0
	s_mov_b32 s1, 0
                                        ; implicit-def: $sgpr3
	ds_load_b32 v0, v2 offset:8
	global_load_b32 v1, v2, s[6:7] offset:8 glc
	s_waitcnt lgkmcnt(0)
	v_readfirstlane_b32 s0, v0
	s_delay_alu instid0(VALU_DEP_1)
	s_cmp_eq_u32 s0, 0x80000000
	s_cselect_b32 s2, -1, 0
	s_branch .LBB1_36
	.p2align	6
.LBB1_35:                               ;   in Loop: Header=BB1_36 Depth=1
	s_or_b32 exec_lo, exec_lo, s0
	s_delay_alu instid0(SALU_CYCLE_1) | instskip(NEXT) | instid1(SALU_CYCLE_1)
	s_and_b32 s0, exec_lo, s3
	s_or_b32 s1, s0, s1
	s_delay_alu instid0(SALU_CYCLE_1)
	s_and_not1_b32 exec_lo, exec_lo, s1
	s_cbranch_execz .LBB1_38
.LBB1_36:                               ; =>This Inner Loop Header: Depth=1
	s_waitcnt vmcnt(0)
	v_cmp_eq_f32_e32 vcc_lo, 0, v1
	v_cmp_lt_f32_e64 s0, v0, v1
	s_or_b32 s3, s3, exec_lo
	s_and_b32 s4, s2, vcc_lo
	s_delay_alu instid0(VALU_DEP_1) | instid1(SALU_CYCLE_1)
	s_or_b32 s4, s0, s4
	s_delay_alu instid0(SALU_CYCLE_1)
	s_and_saveexec_b32 s0, s4
	s_cbranch_execz .LBB1_35
; %bb.37:                               ;   in Loop: Header=BB1_36 Depth=1
	global_atomic_cmpswap_b32 v3, v2, v[0:1], s[6:7] offset:8 glc
	s_and_not1_b32 s3, s3, exec_lo
	s_waitcnt vmcnt(0)
	v_cmp_eq_u32_e32 vcc_lo, v3, v1
	v_mov_b32_e32 v1, v3
	s_and_b32 s4, vcc_lo, exec_lo
	s_delay_alu instid0(SALU_CYCLE_1)
	s_or_b32 s3, s3, s4
	s_branch .LBB1_35
.LBB1_38:
	s_or_b32 exec_lo, exec_lo, s1
	v_mov_b32_e32 v2, 0
	s_mov_b32 s1, 0
                                        ; implicit-def: $sgpr2
                                        ; implicit-def: $sgpr3
	ds_load_b32 v0, v2 offset:12
	global_load_b32 v1, v2, s[6:7] offset:12 glc
	s_waitcnt lgkmcnt(0)
	v_cmp_eq_f32_e32 vcc_lo, 0, v0
	s_waitcnt vmcnt(0)
	v_cmp_eq_u32_e64 s4, 0x80000000, v1
	s_set_inst_prefetch_distance 0x1
	s_branch .LBB1_40
	.p2align	6
.LBB1_39:                               ;   in Loop: Header=BB1_40 Depth=1
	s_or_b32 exec_lo, exec_lo, s5
	s_delay_alu instid0(SALU_CYCLE_1) | instskip(NEXT) | instid1(SALU_CYCLE_1)
	s_and_b32 s0, exec_lo, s2
	s_or_b32 s1, s0, s1
	s_and_not1_b32 s0, s4, exec_lo
	s_and_b32 s4, s3, exec_lo
	s_delay_alu instid0(SALU_CYCLE_1)
	s_or_b32 s4, s0, s4
	s_and_not1_b32 exec_lo, exec_lo, s1
	s_cbranch_execz .LBB1_42
.LBB1_40:                               ; =>This Inner Loop Header: Depth=1
	v_cmp_lt_f32_e64 s0, v1, v0
	s_delay_alu instid0(VALU_DEP_2) | instskip(SKIP_2) | instid1(VALU_DEP_1)
	s_and_b32 s5, vcc_lo, s4
	s_and_not1_b32 s3, s3, exec_lo
	s_or_b32 s2, s2, exec_lo
	s_or_b32 s0, s0, s5
	s_delay_alu instid0(SALU_CYCLE_1)
	s_and_saveexec_b32 s5, s0
	s_cbranch_execz .LBB1_39
; %bb.41:                               ;   in Loop: Header=BB1_40 Depth=1
	global_atomic_cmpswap_b32 v3, v2, v[0:1], s[6:7] offset:12 glc
	s_and_not1_b32 s3, s3, exec_lo
	s_and_not1_b32 s2, s2, exec_lo
	s_waitcnt vmcnt(0)
	v_cmp_eq_u32_e64 s0, v3, v1
	s_delay_alu instid0(VALU_DEP_1) | instskip(SKIP_1) | instid1(SALU_CYCLE_1)
	v_cndmask_b32_e64 v1, v3, v1, s0
	s_and_b32 s0, s0, exec_lo
	s_or_b32 s2, s2, s0
	s_delay_alu instid0(VALU_DEP_1) | instskip(SKIP_1) | instid1(VALU_DEP_2)
	v_cmp_class_f32_e64 s4, v1, 32
	v_mov_b32_e32 v1, v3
	s_and_b32 s4, s4, exec_lo
	s_delay_alu instid0(SALU_CYCLE_1)
	s_or_b32 s3, s3, s4
                                        ; implicit-def: $sgpr4
	s_branch .LBB1_39
.LBB1_42:
	s_set_inst_prefetch_distance 0x2
	s_nop 0
	s_sendmsg sendmsg(MSG_DEALLOC_VGPRS)
	s_endpgm
	.section	.rodata,"a",@progbits
	.p2align	6, 0x0
	.amdhsa_kernel check_numerics_fp16
		.amdhsa_group_segment_fixed_size 4096
		.amdhsa_private_segment_fixed_size 0
		.amdhsa_kernarg_size 288
		.amdhsa_user_sgpr_count 15
		.amdhsa_user_sgpr_dispatch_ptr 0
		.amdhsa_user_sgpr_queue_ptr 0
		.amdhsa_user_sgpr_kernarg_segment_ptr 1
		.amdhsa_user_sgpr_dispatch_id 0
		.amdhsa_user_sgpr_private_segment_size 0
		.amdhsa_wavefront_size32 1
		.amdhsa_uses_dynamic_stack 0
		.amdhsa_enable_private_segment 0
		.amdhsa_system_sgpr_workgroup_id_x 1
		.amdhsa_system_sgpr_workgroup_id_y 0
		.amdhsa_system_sgpr_workgroup_id_z 0
		.amdhsa_system_sgpr_workgroup_info 0
		.amdhsa_system_vgpr_workitem_id 0
		.amdhsa_next_free_vgpr 16
		.amdhsa_next_free_sgpr 16
		.amdhsa_reserve_vcc 1
		.amdhsa_float_round_mode_32 0
		.amdhsa_float_round_mode_16_64 0
		.amdhsa_float_denorm_mode_32 3
		.amdhsa_float_denorm_mode_16_64 3
		.amdhsa_dx10_clamp 1
		.amdhsa_ieee_mode 1
		.amdhsa_fp16_overflow 0
		.amdhsa_workgroup_processor_mode 1
		.amdhsa_memory_ordered 1
		.amdhsa_forward_progress 0
		.amdhsa_shared_vgpr_count 0
		.amdhsa_exception_fp_ieee_invalid_op 0
		.amdhsa_exception_fp_denorm_src 0
		.amdhsa_exception_fp_ieee_div_zero 0
		.amdhsa_exception_fp_ieee_overflow 0
		.amdhsa_exception_fp_ieee_underflow 0
		.amdhsa_exception_fp_ieee_inexact 0
		.amdhsa_exception_int_div_zero 0
	.end_amdhsa_kernel
	.text
.Lfunc_end1:
	.size	check_numerics_fp16, .Lfunc_end1-check_numerics_fp16
                                        ; -- End function
	.section	.AMDGPU.csdata,"",@progbits
; Kernel info:
; codeLenInByte = 1932
; NumSgprs: 18
; NumVgprs: 16
; ScratchSize: 0
; MemoryBound: 0
; FloatMode: 240
; IeeeMode: 1
; LDSByteSize: 4096 bytes/workgroup (compile time only)
; SGPRBlocks: 2
; VGPRBlocks: 1
; NumSGPRsForWavesPerEU: 18
; NumVGPRsForWavesPerEU: 16
; Occupancy: 16
; WaveLimiterHint : 0
; COMPUTE_PGM_RSRC2:SCRATCH_EN: 0
; COMPUTE_PGM_RSRC2:USER_SGPR: 15
; COMPUTE_PGM_RSRC2:TRAP_HANDLER: 0
; COMPUTE_PGM_RSRC2:TGID_X_EN: 1
; COMPUTE_PGM_RSRC2:TGID_Y_EN: 0
; COMPUTE_PGM_RSRC2:TGID_Z_EN: 0
; COMPUTE_PGM_RSRC2:TIDIG_COMP_CNT: 0
	.text
	.protected	check_numerics_bf16     ; -- Begin function check_numerics_bf16
	.globl	check_numerics_bf16
	.p2align	8
	.type	check_numerics_bf16,@function
check_numerics_bf16:                    ; @check_numerics_bf16
; %bb.0:
	s_load_b32 s2, s[0:1], 0x20
	s_add_u32 s3, s0, 32
	s_addc_u32 s5, s1, 0
	v_mov_b32_e32 v6, 0
	s_waitcnt lgkmcnt(0)
	s_cmp_lt_u32 s15, s2
	s_cselect_b32 s4, 12, 18
	s_delay_alu instid0(SALU_CYCLE_1)
	s_add_u32 s4, s3, s4
	s_addc_u32 s5, s5, 0
	s_mov_b32 s3, exec_lo
	global_load_u16 v1, v6, s[4:5]
	s_load_b128 s[4:7], s[0:1], 0x8
	s_waitcnt vmcnt(0)
	v_mad_u64_u32 v[2:3], null, s15, v1, v[0:1]
	s_delay_alu instid0(VALU_DEP_1)
	v_mov_b32_e32 v5, v2
	v_mov_b32_e32 v2, v6
	;; [unrolled: 1-line block ×4, first 2 shown]
	s_waitcnt lgkmcnt(0)
	v_cmpx_gt_u64_e64 s[4:5], v[5:6]
	s_cbranch_execz .LBB2_10
; %bb.1:
	s_load_b64 s[8:9], s[0:1], 0x0
	v_mul_lo_u32 v3, s2, v1
	v_lshlrev_b64 v[9:10], 1, v[5:6]
	v_dual_mov_b32 v4, v6 :: v_dual_mov_b32 v11, 1
	v_mov_b32_e32 v8, v6
	v_dual_mov_b32 v2, v6 :: v_dual_mov_b32 v7, v5
	v_mov_b32_e32 v1, v6
	s_delay_alu instid0(VALU_DEP_4)
	v_lshlrev_b64 v[4:5], 1, v[3:4]
	v_mov_b32_e32 v12, v6
	v_mov_b32_e32 v13, v6
	s_waitcnt lgkmcnt(0)
	v_add_co_u32 v9, vcc_lo, s8, v9
	v_add_co_ci_u32_e32 v10, vcc_lo, s9, v10, vcc_lo
	s_mov_b32 s8, 0
	s_set_inst_prefetch_distance 0x1
	s_branch .LBB2_3
	.p2align	6
.LBB2_2:                                ;   in Loop: Header=BB2_3 Depth=1
	s_or_b32 exec_lo, exec_lo, s2
	v_lshlrev_b32_e32 v17, 16, v12
	v_add_co_u32 v7, vcc_lo, v7, v3
	v_add_co_ci_u32_e32 v8, vcc_lo, 0, v8, vcc_lo
	v_dual_add_f32 v1, v1, v15 :: v_dual_lshlrev_b32 v16, 16, v13
	s_delay_alu instid0(VALU_DEP_4)
	v_cmp_gt_f32_e32 vcc_lo, v15, v17
	v_add_co_u32 v9, s2, v9, v4
	v_add_f32_e64 v2, v2, |v15|
	v_add_co_ci_u32_e64 v10, s2, v10, v5, s2
	v_cndmask_b32_e32 v12, v14, v12, vcc_lo
	v_cmp_lt_f32_e32 vcc_lo, v15, v16
	v_cndmask_b32_e32 v13, v14, v13, vcc_lo
	v_cmp_le_u64_e32 vcc_lo, s[4:5], v[7:8]
	s_or_b32 s8, vcc_lo, s8
	s_delay_alu instid0(SALU_CYCLE_1)
	s_and_not1_b32 exec_lo, exec_lo, s8
	s_cbranch_execz .LBB2_9
.LBB2_3:                                ; =>This Inner Loop Header: Depth=1
	global_load_u16 v14, v[9:10], off
	s_mov_b32 s2, exec_lo
	s_waitcnt vmcnt(0)
	v_lshlrev_b32_e32 v15, 16, v14
	s_delay_alu instid0(VALU_DEP_1)
	v_cmpx_eq_f32_e32 0, v15
	s_cbranch_execz .LBB2_5
; %bb.4:                                ;   in Loop: Header=BB2_3 Depth=1
	global_store_b32 v6, v11, s[6:7] offset:16
.LBB2_5:                                ;   in Loop: Header=BB2_3 Depth=1
	s_or_b32 exec_lo, exec_lo, s2
	s_delay_alu instid0(SALU_CYCLE_1)
	s_mov_b32 s2, exec_lo
	v_cmpx_u_f32_e32 v15, v15
	s_cbranch_execz .LBB2_7
; %bb.6:                                ;   in Loop: Header=BB2_3 Depth=1
	global_store_b32 v6, v11, s[6:7] offset:20
.LBB2_7:                                ;   in Loop: Header=BB2_3 Depth=1
	s_or_b32 exec_lo, exec_lo, s2
	v_cmp_class_f32_e64 s9, v15, 0x204
	s_delay_alu instid0(VALU_DEP_1)
	s_and_saveexec_b32 s2, s9
	s_cbranch_execz .LBB2_2
; %bb.8:                                ;   in Loop: Header=BB2_3 Depth=1
	global_store_b32 v6, v11, s[6:7] offset:24
	s_branch .LBB2_2
.LBB2_9:
	s_set_inst_prefetch_distance 0x2
	s_or_b32 exec_lo, exec_lo, s8
	v_dual_mov_b32 v6, v1 :: v_dual_lshlrev_b32 v3, 16, v12
	v_lshlrev_b32_e32 v4, 16, v13
.LBB2_10:
	s_or_b32 exec_lo, exec_lo, s3
	s_load_b32 s0, s[0:1], 0x18
	s_waitcnt lgkmcnt(0)
	s_bitcmp1_b32 s0, 0
	s_cselect_b32 s0, -1, 0
	s_delay_alu instid0(SALU_CYCLE_1)
	s_and_b32 vcc_lo, exec_lo, s0
	s_cbranch_vccz .LBB2_42
; %bb.11:
	v_lshlrev_b32_e32 v5, 4, v0
	v_mov_b32_e32 v1, v6
	s_mov_b32 s0, exec_lo
	ds_store_b128 v5, v[1:4]
	s_waitcnt lgkmcnt(0)
	s_waitcnt_vscnt null, 0x0
	s_barrier
	buffer_gl0_inv
	v_cmpx_gt_u32_e32 0x80, v0
	s_cbranch_execz .LBB2_13
; %bb.12:
	ds_load_b128 v[1:4], v5 offset:2048
	ds_load_b128 v[6:9], v5
	s_waitcnt lgkmcnt(0)
	v_dual_max_f32 v3, v3, v3 :: v_dual_max_f32 v8, v8, v8
	v_dual_max_f32 v4, v4, v4 :: v_dual_max_f32 v9, v9, v9
	v_dual_add_f32 v1, v1, v6 :: v_dual_add_f32 v2, v2, v7
	s_delay_alu instid0(VALU_DEP_2)
	v_dual_min_f32 v3, v8, v3 :: v_dual_max_f32 v4, v9, v4
	ds_store_b128 v5, v[1:4]
.LBB2_13:
	s_or_b32 exec_lo, exec_lo, s0
	s_delay_alu instid0(SALU_CYCLE_1)
	s_mov_b32 s0, exec_lo
	s_waitcnt lgkmcnt(0)
	s_barrier
	buffer_gl0_inv
	v_cmpx_gt_u32_e32 64, v0
	s_cbranch_execz .LBB2_15
; %bb.14:
	ds_load_b128 v[1:4], v5 offset:1024
	ds_load_b128 v[6:9], v5
	s_waitcnt lgkmcnt(0)
	v_dual_max_f32 v3, v3, v3 :: v_dual_max_f32 v8, v8, v8
	v_dual_max_f32 v4, v4, v4 :: v_dual_max_f32 v9, v9, v9
	v_dual_add_f32 v1, v1, v6 :: v_dual_add_f32 v2, v2, v7
	s_delay_alu instid0(VALU_DEP_2)
	v_dual_min_f32 v3, v8, v3 :: v_dual_max_f32 v4, v9, v4
	ds_store_b128 v5, v[1:4]
.LBB2_15:
	s_or_b32 exec_lo, exec_lo, s0
	s_delay_alu instid0(SALU_CYCLE_1)
	s_mov_b32 s0, exec_lo
	s_waitcnt lgkmcnt(0)
	;; [unrolled: 19-line block ×6, first 2 shown]
	s_barrier
	buffer_gl0_inv
	v_cmpx_gt_u32_e32 2, v0
	s_cbranch_execz .LBB2_25
; %bb.24:
	ds_load_b128 v[1:4], v5 offset:32
	ds_load_b128 v[6:9], v5
	s_waitcnt lgkmcnt(0)
	v_dual_max_f32 v3, v3, v3 :: v_dual_max_f32 v8, v8, v8
	v_dual_max_f32 v4, v4, v4 :: v_dual_max_f32 v9, v9, v9
	v_dual_add_f32 v1, v1, v6 :: v_dual_add_f32 v2, v2, v7
	s_delay_alu instid0(VALU_DEP_2)
	v_dual_min_f32 v3, v8, v3 :: v_dual_max_f32 v4, v9, v4
	ds_store_b128 v5, v[1:4]
.LBB2_25:
	s_or_b32 exec_lo, exec_lo, s0
	v_cmp_eq_u32_e32 vcc_lo, 0, v0
	s_waitcnt lgkmcnt(0)
	s_barrier
	buffer_gl0_inv
	s_and_saveexec_b32 s0, vcc_lo
	s_cbranch_execz .LBB2_27
; %bb.26:
	ds_load_b128 v[0:3], v5 offset:16
	ds_load_b128 v[6:9], v5
	s_waitcnt lgkmcnt(1)
	v_dual_max_f32 v2, v2, v2 :: v_dual_max_f32 v3, v3, v3
	s_waitcnt lgkmcnt(0)
	v_dual_max_f32 v4, v8, v8 :: v_dual_add_f32 v1, v1, v7
	v_max_f32_e32 v8, v9, v9
	v_add_f32_e32 v0, v0, v6
	s_delay_alu instid0(VALU_DEP_3) | instskip(NEXT) | instid1(VALU_DEP_3)
	v_min_f32_e32 v2, v4, v2
	v_max_f32_e32 v3, v8, v3
	ds_store_b128 v5, v[0:3]
.LBB2_27:
	s_or_b32 exec_lo, exec_lo, s0
	s_waitcnt lgkmcnt(0)
	s_barrier
	buffer_gl0_inv
	s_and_saveexec_b32 s0, vcc_lo
	s_cbranch_execz .LBB2_42
; %bb.28:
	s_mov_b32 s2, exec_lo
	s_mov_b32 s1, 0
	v_mbcnt_lo_u32_b32 v0, s2, 0
	s_mov_b32 s0, exec_lo
	s_delay_alu instid0(VALU_DEP_1)
	v_cmpx_eq_u32_e32 0, v0
	s_cbranch_execz .LBB2_31
; %bb.29:
	s_bcnt1_i32_b32 s2, s2
	s_load_b32 s3, s[6:7], 0x0
	v_cvt_f32_ubyte0_e32 v1, s2
	v_mov_b32_e32 v2, 0
	ds_load_b32 v0, v2
	s_waitcnt lgkmcnt(0)
	v_mul_f32_e32 v3, v0, v1
	v_mov_b32_e32 v1, s3
.LBB2_30:                               ; =>This Inner Loop Header: Depth=1
	s_delay_alu instid0(VALU_DEP_1)
	v_add_f32_e32 v0, v1, v3
	global_atomic_cmpswap_b32 v0, v2, v[0:1], s[6:7] glc
	s_waitcnt vmcnt(0)
	v_cmp_eq_u32_e32 vcc_lo, v0, v1
	v_mov_b32_e32 v1, v0
	s_or_b32 s1, vcc_lo, s1
	s_delay_alu instid0(SALU_CYCLE_1)
	s_and_not1_b32 exec_lo, exec_lo, s1
	s_cbranch_execnz .LBB2_30
.LBB2_31:
	s_or_b32 exec_lo, exec_lo, s0
	s_delay_alu instid0(SALU_CYCLE_1) | instskip(SKIP_3) | instid1(VALU_DEP_1)
	s_mov_b32 s2, exec_lo
	s_mov_b32 s1, 0
	v_mbcnt_lo_u32_b32 v0, s2, 0
	s_mov_b32 s0, exec_lo
	v_cmpx_eq_u32_e32 0, v0
	s_cbranch_execz .LBB2_34
; %bb.32:
	s_bcnt1_i32_b32 s2, s2
	s_load_b32 s3, s[6:7], 0x4
	v_cvt_f32_ubyte0_e32 v1, s2
	v_mov_b32_e32 v2, 0
	ds_load_b32 v0, v2 offset:4
	s_waitcnt lgkmcnt(0)
	v_mul_f32_e32 v3, v0, v1
	v_mov_b32_e32 v1, s3
.LBB2_33:                               ; =>This Inner Loop Header: Depth=1
	s_delay_alu instid0(VALU_DEP_1)
	v_add_f32_e32 v0, v1, v3
	global_atomic_cmpswap_b32 v0, v2, v[0:1], s[6:7] offset:4 glc
	s_waitcnt vmcnt(0)
	v_cmp_eq_u32_e32 vcc_lo, v0, v1
	v_mov_b32_e32 v1, v0
	s_or_b32 s1, vcc_lo, s1
	s_delay_alu instid0(SALU_CYCLE_1)
	s_and_not1_b32 exec_lo, exec_lo, s1
	s_cbranch_execnz .LBB2_33
.LBB2_34:
	s_or_b32 exec_lo, exec_lo, s0
	v_mov_b32_e32 v2, 0
	s_mov_b32 s1, 0
                                        ; implicit-def: $sgpr3
	ds_load_b32 v0, v2 offset:8
	global_load_b32 v1, v2, s[6:7] offset:8 glc
	s_waitcnt lgkmcnt(0)
	v_readfirstlane_b32 s0, v0
	s_delay_alu instid0(VALU_DEP_1)
	s_cmp_eq_u32 s0, 0x80000000
	s_cselect_b32 s2, -1, 0
	s_branch .LBB2_36
	.p2align	6
.LBB2_35:                               ;   in Loop: Header=BB2_36 Depth=1
	s_or_b32 exec_lo, exec_lo, s0
	s_delay_alu instid0(SALU_CYCLE_1) | instskip(NEXT) | instid1(SALU_CYCLE_1)
	s_and_b32 s0, exec_lo, s3
	s_or_b32 s1, s0, s1
	s_delay_alu instid0(SALU_CYCLE_1)
	s_and_not1_b32 exec_lo, exec_lo, s1
	s_cbranch_execz .LBB2_38
.LBB2_36:                               ; =>This Inner Loop Header: Depth=1
	s_waitcnt vmcnt(0)
	v_cmp_eq_f32_e32 vcc_lo, 0, v1
	v_cmp_lt_f32_e64 s0, v0, v1
	s_or_b32 s3, s3, exec_lo
	s_and_b32 s4, s2, vcc_lo
	s_delay_alu instid0(VALU_DEP_1) | instid1(SALU_CYCLE_1)
	s_or_b32 s4, s0, s4
	s_delay_alu instid0(SALU_CYCLE_1)
	s_and_saveexec_b32 s0, s4
	s_cbranch_execz .LBB2_35
; %bb.37:                               ;   in Loop: Header=BB2_36 Depth=1
	global_atomic_cmpswap_b32 v3, v2, v[0:1], s[6:7] offset:8 glc
	s_and_not1_b32 s3, s3, exec_lo
	s_waitcnt vmcnt(0)
	v_cmp_eq_u32_e32 vcc_lo, v3, v1
	v_mov_b32_e32 v1, v3
	s_and_b32 s4, vcc_lo, exec_lo
	s_delay_alu instid0(SALU_CYCLE_1)
	s_or_b32 s3, s3, s4
	s_branch .LBB2_35
.LBB2_38:
	s_or_b32 exec_lo, exec_lo, s1
	v_mov_b32_e32 v2, 0
	s_mov_b32 s1, 0
                                        ; implicit-def: $sgpr2
                                        ; implicit-def: $sgpr3
	ds_load_b32 v0, v2 offset:12
	global_load_b32 v1, v2, s[6:7] offset:12 glc
	s_waitcnt lgkmcnt(0)
	v_cmp_eq_f32_e32 vcc_lo, 0, v0
	s_waitcnt vmcnt(0)
	v_cmp_eq_u32_e64 s4, 0x80000000, v1
	s_set_inst_prefetch_distance 0x1
	s_branch .LBB2_40
	.p2align	6
.LBB2_39:                               ;   in Loop: Header=BB2_40 Depth=1
	s_or_b32 exec_lo, exec_lo, s5
	s_delay_alu instid0(SALU_CYCLE_1) | instskip(NEXT) | instid1(SALU_CYCLE_1)
	s_and_b32 s0, exec_lo, s2
	s_or_b32 s1, s0, s1
	s_and_not1_b32 s0, s4, exec_lo
	s_and_b32 s4, s3, exec_lo
	s_delay_alu instid0(SALU_CYCLE_1)
	s_or_b32 s4, s0, s4
	s_and_not1_b32 exec_lo, exec_lo, s1
	s_cbranch_execz .LBB2_42
.LBB2_40:                               ; =>This Inner Loop Header: Depth=1
	v_cmp_lt_f32_e64 s0, v1, v0
	s_delay_alu instid0(VALU_DEP_2) | instskip(SKIP_2) | instid1(VALU_DEP_1)
	s_and_b32 s5, vcc_lo, s4
	s_and_not1_b32 s3, s3, exec_lo
	s_or_b32 s2, s2, exec_lo
	s_or_b32 s0, s0, s5
	s_delay_alu instid0(SALU_CYCLE_1)
	s_and_saveexec_b32 s5, s0
	s_cbranch_execz .LBB2_39
; %bb.41:                               ;   in Loop: Header=BB2_40 Depth=1
	global_atomic_cmpswap_b32 v3, v2, v[0:1], s[6:7] offset:12 glc
	s_and_not1_b32 s3, s3, exec_lo
	s_and_not1_b32 s2, s2, exec_lo
	s_waitcnt vmcnt(0)
	v_cmp_eq_u32_e64 s0, v3, v1
	s_delay_alu instid0(VALU_DEP_1) | instskip(SKIP_1) | instid1(SALU_CYCLE_1)
	v_cndmask_b32_e64 v1, v3, v1, s0
	s_and_b32 s0, s0, exec_lo
	s_or_b32 s2, s2, s0
	s_delay_alu instid0(VALU_DEP_1) | instskip(SKIP_1) | instid1(VALU_DEP_2)
	v_cmp_class_f32_e64 s4, v1, 32
	v_mov_b32_e32 v1, v3
	s_and_b32 s4, s4, exec_lo
	s_delay_alu instid0(SALU_CYCLE_1)
	s_or_b32 s3, s3, s4
                                        ; implicit-def: $sgpr4
	s_branch .LBB2_39
.LBB2_42:
	s_set_inst_prefetch_distance 0x2
	s_nop 0
	s_sendmsg sendmsg(MSG_DEALLOC_VGPRS)
	s_endpgm
	.section	.rodata,"a",@progbits
	.p2align	6, 0x0
	.amdhsa_kernel check_numerics_bf16
		.amdhsa_group_segment_fixed_size 4096
		.amdhsa_private_segment_fixed_size 0
		.amdhsa_kernarg_size 288
		.amdhsa_user_sgpr_count 15
		.amdhsa_user_sgpr_dispatch_ptr 0
		.amdhsa_user_sgpr_queue_ptr 0
		.amdhsa_user_sgpr_kernarg_segment_ptr 1
		.amdhsa_user_sgpr_dispatch_id 0
		.amdhsa_user_sgpr_private_segment_size 0
		.amdhsa_wavefront_size32 1
		.amdhsa_uses_dynamic_stack 0
		.amdhsa_enable_private_segment 0
		.amdhsa_system_sgpr_workgroup_id_x 1
		.amdhsa_system_sgpr_workgroup_id_y 0
		.amdhsa_system_sgpr_workgroup_id_z 0
		.amdhsa_system_sgpr_workgroup_info 0
		.amdhsa_system_vgpr_workitem_id 0
		.amdhsa_next_free_vgpr 18
		.amdhsa_next_free_sgpr 16
		.amdhsa_reserve_vcc 1
		.amdhsa_float_round_mode_32 0
		.amdhsa_float_round_mode_16_64 0
		.amdhsa_float_denorm_mode_32 3
		.amdhsa_float_denorm_mode_16_64 3
		.amdhsa_dx10_clamp 1
		.amdhsa_ieee_mode 1
		.amdhsa_fp16_overflow 0
		.amdhsa_workgroup_processor_mode 1
		.amdhsa_memory_ordered 1
		.amdhsa_forward_progress 0
		.amdhsa_shared_vgpr_count 0
		.amdhsa_exception_fp_ieee_invalid_op 0
		.amdhsa_exception_fp_denorm_src 0
		.amdhsa_exception_fp_ieee_div_zero 0
		.amdhsa_exception_fp_ieee_overflow 0
		.amdhsa_exception_fp_ieee_underflow 0
		.amdhsa_exception_fp_ieee_inexact 0
		.amdhsa_exception_int_div_zero 0
	.end_amdhsa_kernel
	.text
.Lfunc_end2:
	.size	check_numerics_bf16, .Lfunc_end2-check_numerics_bf16
                                        ; -- End function
	.section	.AMDGPU.csdata,"",@progbits
; Kernel info:
; codeLenInByte = 1948
; NumSgprs: 18
; NumVgprs: 18
; ScratchSize: 0
; MemoryBound: 0
; FloatMode: 240
; IeeeMode: 1
; LDSByteSize: 4096 bytes/workgroup (compile time only)
; SGPRBlocks: 2
; VGPRBlocks: 2
; NumSGPRsForWavesPerEU: 18
; NumVGPRsForWavesPerEU: 18
; Occupancy: 16
; WaveLimiterHint : 0
; COMPUTE_PGM_RSRC2:SCRATCH_EN: 0
; COMPUTE_PGM_RSRC2:USER_SGPR: 15
; COMPUTE_PGM_RSRC2:TRAP_HANDLER: 0
; COMPUTE_PGM_RSRC2:TGID_X_EN: 1
; COMPUTE_PGM_RSRC2:TGID_Y_EN: 0
; COMPUTE_PGM_RSRC2:TGID_Z_EN: 0
; COMPUTE_PGM_RSRC2:TIDIG_COMP_CNT: 0
	.text
	.protected	check_numerics_fp8      ; -- Begin function check_numerics_fp8
	.globl	check_numerics_fp8
	.p2align	8
	.type	check_numerics_fp8,@function
check_numerics_fp8:                     ; @check_numerics_fp8
; %bb.0:
	s_load_b32 s2, s[0:1], 0x20
	s_add_u32 s3, s0, 32
	s_addc_u32 s5, s1, 0
	v_dual_mov_b32 v2, 0 :: v_dual_mov_b32 v7, 0x77
	s_mov_b32 s10, 0
	s_waitcnt lgkmcnt(0)
	s_cmp_lt_u32 s15, s2
	s_cselect_b32 s4, 12, 18
	s_delay_alu instid0(SALU_CYCLE_1)
	s_add_u32 s4, s3, s4
	s_addc_u32 s5, s5, 0
	s_mov_b32 s3, exec_lo
	global_load_u16 v4, v2, s[4:5]
	s_load_b128 s[4:7], s[0:1], 0x8
	s_waitcnt vmcnt(0)
	v_mad_u64_u32 v[5:6], null, s15, v4, v[0:1]
	s_delay_alu instid0(VALU_DEP_1) | instskip(SKIP_2) | instid1(VALU_DEP_2)
	v_dual_mov_b32 v6, 8 :: v_dual_mov_b32 v1, v5
	v_mov_b32_e32 v3, v2
	s_waitcnt lgkmcnt(0)
	v_cmpx_gt_u64_e64 s[4:5], v[1:2]
	s_cbranch_execz .LBB3_90
; %bb.1:
	s_load_b64 s[8:9], s[0:1], 0x0
	v_mul_lo_u32 v9, s2, v4
	v_dual_mov_b32 v8, 0 :: v_dual_mov_b32 v7, 0x77
	v_dual_mov_b32 v6, 8 :: v_dual_mov_b32 v11, 0x7f800000
	;; [unrolled: 1-line block ×4, first 2 shown]
	s_branch .LBB3_3
.LBB3_2:                                ;   in Loop: Header=BB3_3 Depth=1
	s_or_b32 exec_lo, exec_lo, s2
	v_add_co_u32 v4, vcc_lo, v4, v9
	v_add_co_ci_u32_e32 v5, vcc_lo, 0, v5, vcc_lo
	v_cmp_gt_f32_e32 vcc_lo, v17, v16
	v_cmp_lt_f32_e64 s2, v15, v14
	v_add_f32_e64 v3, v3, |v13|
	v_add_f32_e32 v8, v8, v12
	v_cndmask_b32_e32 v6, v1, v6, vcc_lo
	v_cmp_le_u64_e32 vcc_lo, s[4:5], v[4:5]
	v_cndmask_b32_e64 v7, v1, v7, s2
	s_or_b32 s10, vcc_lo, s10
	s_delay_alu instid0(SALU_CYCLE_1)
	s_and_not1_b32 exec_lo, exec_lo, s10
	s_cbranch_execz .LBB3_89
.LBB3_3:                                ; =>This Inner Loop Header: Depth=1
	s_waitcnt lgkmcnt(0)
	s_delay_alu instid0(VALU_DEP_1) | instskip(NEXT) | instid1(VALU_DEP_2)
	v_add_co_u32 v12, vcc_lo, s8, v4
	v_add_co_ci_u32_e32 v13, vcc_lo, s9, v5, vcc_lo
	global_load_i8 v1, v[12:13], off
	v_mov_b32_e32 v12, 0
	s_waitcnt vmcnt(0)
	v_cmp_ne_u16_e32 vcc_lo, 0, v1
	s_and_saveexec_b32 s11, vcc_lo
	s_cbranch_execz .LBB3_13
; %bb.4:                                ;   in Loop: Header=BB3_3 Depth=1
	v_bfrev_b32_e32 v12, 1
	s_mov_b32 s12, exec_lo
	v_cmpx_ne_u16_e32 0xff80, v1
	s_cbranch_execz .LBB3_12
; %bb.5:                                ;   in Loop: Header=BB3_3 Depth=1
	v_lshrrev_b16 v12, 3, v1
	v_and_b32_e32 v13, 7, v1
	s_mov_b32 s13, exec_lo
	s_delay_alu instid0(VALU_DEP_2) | instskip(NEXT) | instid1(VALU_DEP_1)
	v_and_b32_e32 v14, 15, v12
                                        ; implicit-def: $vgpr12
	v_cmpx_lt_i32_e32 14, v14
	s_xor_b32 s13, exec_lo, s13
; %bb.6:                                ;   in Loop: Header=BB3_3 Depth=1
	v_cmp_lt_i16_e64 s2, -1, v1
                                        ; implicit-def: $vgpr14
	s_delay_alu instid0(VALU_DEP_1) | instskip(SKIP_1) | instid1(VALU_DEP_1)
	v_cndmask_b32_e64 v12, 0xff800000, v11, s2
	v_cmp_eq_u32_e64 s2, 0, v13
                                        ; implicit-def: $vgpr13
	v_cndmask_b32_e64 v12, 0x7f800001, v12, s2
; %bb.7:                                ;   in Loop: Header=BB3_3 Depth=1
	s_and_not1_saveexec_b32 s13, s13
	s_cbranch_execz .LBB3_11
; %bb.8:                                ;   in Loop: Header=BB3_3 Depth=1
	s_mov_b32 s14, exec_lo
	v_cmpx_eq_u32_e32 0, v14
; %bb.9:                                ;   in Loop: Header=BB3_3 Depth=1
	v_clz_i32_u32_e32 v12, v13
	v_and_b32_e32 v13, 0xff, v1
	s_delay_alu instid0(VALU_DEP_2) | instskip(NEXT) | instid1(VALU_DEP_1)
	v_subrev_nc_u32_e32 v14, 28, v12
	v_lshlrev_b32_e32 v13, v14, v13
	v_sub_nc_u32_e32 v14, 29, v12
	s_delay_alu instid0(VALU_DEP_2)
	v_and_b32_e32 v13, 7, v13
; %bb.10:                               ;   in Loop: Header=BB3_3 Depth=1
	s_or_b32 exec_lo, exec_lo, s14
	v_bfe_i32 v12, v1, 0, 16
	s_delay_alu instid0(VALU_DEP_2) | instskip(SKIP_1) | instid1(VALU_DEP_3)
	v_lshlrev_b32_e32 v13, 20, v13
	v_lshl_add_u32 v14, v14, 23, 0x3c000000
	v_and_b32_e32 v12, 0x80000000, v12
	s_delay_alu instid0(VALU_DEP_1)
	v_or3_b32 v12, v12, v14, v13
.LBB3_11:                               ;   in Loop: Header=BB3_3 Depth=1
	s_or_b32 exec_lo, exec_lo, s13
.LBB3_12:                               ;   in Loop: Header=BB3_3 Depth=1
	s_delay_alu instid0(SALU_CYCLE_1)
	s_or_b32 exec_lo, exec_lo, s12
.LBB3_13:                               ;   in Loop: Header=BB3_3 Depth=1
	s_delay_alu instid0(SALU_CYCLE_1)
	s_or_b32 exec_lo, exec_lo, s11
	v_mov_b32_e32 v13, 0
	s_and_saveexec_b32 s11, vcc_lo
	s_cbranch_execz .LBB3_23
; %bb.14:                               ;   in Loop: Header=BB3_3 Depth=1
	v_bfrev_b32_e32 v13, 1
	s_mov_b32 s12, exec_lo
	v_cmpx_ne_u16_e32 0xff80, v1
	s_cbranch_execz .LBB3_22
; %bb.15:                               ;   in Loop: Header=BB3_3 Depth=1
	v_lshrrev_b16 v13, 3, v1
	v_and_b32_e32 v14, 7, v1
	s_mov_b32 s13, exec_lo
	s_delay_alu instid0(VALU_DEP_2) | instskip(NEXT) | instid1(VALU_DEP_1)
	v_and_b32_e32 v15, 15, v13
                                        ; implicit-def: $vgpr13
	v_cmpx_lt_i32_e32 14, v15
	s_xor_b32 s13, exec_lo, s13
; %bb.16:                               ;   in Loop: Header=BB3_3 Depth=1
	v_cmp_lt_i16_e64 s2, -1, v1
                                        ; implicit-def: $vgpr15
	s_delay_alu instid0(VALU_DEP_1) | instskip(SKIP_1) | instid1(VALU_DEP_1)
	v_cndmask_b32_e64 v13, 0xff800000, v11, s2
	v_cmp_eq_u32_e64 s2, 0, v14
                                        ; implicit-def: $vgpr14
	v_cndmask_b32_e64 v13, 0x7f800001, v13, s2
; %bb.17:                               ;   in Loop: Header=BB3_3 Depth=1
	s_and_not1_saveexec_b32 s13, s13
	s_cbranch_execz .LBB3_21
; %bb.18:                               ;   in Loop: Header=BB3_3 Depth=1
	s_mov_b32 s14, exec_lo
	v_cmpx_eq_u32_e32 0, v15
; %bb.19:                               ;   in Loop: Header=BB3_3 Depth=1
	v_clz_i32_u32_e32 v13, v14
	v_and_b32_e32 v14, 0xff, v1
	s_delay_alu instid0(VALU_DEP_2) | instskip(NEXT) | instid1(VALU_DEP_1)
	v_subrev_nc_u32_e32 v15, 28, v13
	v_lshlrev_b32_e32 v14, v15, v14
	v_sub_nc_u32_e32 v15, 29, v13
	s_delay_alu instid0(VALU_DEP_2)
	v_and_b32_e32 v14, 7, v14
; %bb.20:                               ;   in Loop: Header=BB3_3 Depth=1
	s_or_b32 exec_lo, exec_lo, s14
	v_bfe_i32 v13, v1, 0, 16
	s_delay_alu instid0(VALU_DEP_2) | instskip(SKIP_1) | instid1(VALU_DEP_3)
	v_lshlrev_b32_e32 v14, 20, v14
	v_lshl_add_u32 v15, v15, 23, 0x3c000000
	v_and_b32_e32 v13, 0x80000000, v13
	s_delay_alu instid0(VALU_DEP_1)
	v_or3_b32 v13, v13, v15, v14
.LBB3_21:                               ;   in Loop: Header=BB3_3 Depth=1
	s_or_b32 exec_lo, exec_lo, s13
.LBB3_22:                               ;   in Loop: Header=BB3_3 Depth=1
	s_delay_alu instid0(SALU_CYCLE_1)
	s_or_b32 exec_lo, exec_lo, s12
.LBB3_23:                               ;   in Loop: Header=BB3_3 Depth=1
	s_delay_alu instid0(SALU_CYCLE_1) | instskip(SKIP_3) | instid1(VALU_DEP_2)
	s_or_b32 exec_lo, exec_lo, s11
	v_dual_mov_b32 v15, 0 :: v_dual_and_b32 v16, 0xff, v7
	v_mov_b32_e32 v14, 0
	s_mov_b32 s11, exec_lo
	v_cmpx_ne_u16_e32 0, v16
	s_cbranch_execz .LBB3_33
; %bb.24:                               ;   in Loop: Header=BB3_3 Depth=1
	v_bfrev_b32_e32 v15, 1
	s_mov_b32 s12, exec_lo
	v_cmpx_ne_u16_e32 0x80, v16
	s_cbranch_execz .LBB3_32
; %bb.25:                               ;   in Loop: Header=BB3_3 Depth=1
	v_lshrrev_b16 v15, 3, v7
	v_and_b32_e32 v17, 7, v7
	s_mov_b32 s13, exec_lo
	s_delay_alu instid0(VALU_DEP_2) | instskip(NEXT) | instid1(VALU_DEP_1)
	v_and_b32_e32 v18, 15, v15
                                        ; implicit-def: $vgpr15
	v_cmpx_lt_i32_e32 14, v18
	s_xor_b32 s13, exec_lo, s13
; %bb.26:                               ;   in Loop: Header=BB3_3 Depth=1
	v_bfe_i32 v15, v7, 0, 8
                                        ; implicit-def: $vgpr18
                                        ; implicit-def: $vgpr16
	s_delay_alu instid0(VALU_DEP_1) | instskip(NEXT) | instid1(VALU_DEP_1)
	v_cmp_lt_i16_e64 s2, -1, v15
	v_cndmask_b32_e64 v15, 0xff800000, v11, s2
	v_cmp_eq_u32_e64 s2, 0, v17
                                        ; implicit-def: $vgpr17
	s_delay_alu instid0(VALU_DEP_1)
	v_cndmask_b32_e64 v15, 0x7f800001, v15, s2
; %bb.27:                               ;   in Loop: Header=BB3_3 Depth=1
	s_and_not1_saveexec_b32 s13, s13
	s_cbranch_execz .LBB3_31
; %bb.28:                               ;   in Loop: Header=BB3_3 Depth=1
	s_mov_b32 s14, exec_lo
	v_cmpx_eq_u32_e32 0, v18
; %bb.29:                               ;   in Loop: Header=BB3_3 Depth=1
	v_clz_i32_u32_e32 v15, v17
	s_delay_alu instid0(VALU_DEP_1) | instskip(SKIP_1) | instid1(VALU_DEP_2)
	v_subrev_nc_u32_e32 v17, 28, v15
	v_sub_nc_u32_e32 v18, 29, v15
	v_lshlrev_b32_e32 v16, v17, v16
	s_delay_alu instid0(VALU_DEP_1)
	v_and_b32_e32 v17, 7, v16
; %bb.30:                               ;   in Loop: Header=BB3_3 Depth=1
	s_or_b32 exec_lo, exec_lo, s14
	v_lshlrev_b32_e32 v15, 24, v7
	s_delay_alu instid0(VALU_DEP_2) | instskip(SKIP_1) | instid1(VALU_DEP_3)
	v_lshlrev_b32_e32 v16, 20, v17
	v_lshl_add_u32 v17, v18, 23, 0x3c000000
	v_and_b32_e32 v15, 0x80000000, v15
	s_delay_alu instid0(VALU_DEP_1)
	v_or3_b32 v15, v15, v17, v16
.LBB3_31:                               ;   in Loop: Header=BB3_3 Depth=1
	s_or_b32 exec_lo, exec_lo, s13
.LBB3_32:                               ;   in Loop: Header=BB3_3 Depth=1
	s_delay_alu instid0(SALU_CYCLE_1)
	s_or_b32 exec_lo, exec_lo, s12
.LBB3_33:                               ;   in Loop: Header=BB3_3 Depth=1
	s_delay_alu instid0(SALU_CYCLE_1)
	s_or_b32 exec_lo, exec_lo, s11
	s_and_saveexec_b32 s11, vcc_lo
	s_cbranch_execz .LBB3_43
; %bb.34:                               ;   in Loop: Header=BB3_3 Depth=1
	v_bfrev_b32_e32 v14, 1
	s_mov_b32 s12, exec_lo
	v_cmpx_ne_u16_e32 0xff80, v1
	s_cbranch_execz .LBB3_42
; %bb.35:                               ;   in Loop: Header=BB3_3 Depth=1
	v_lshrrev_b16 v14, 3, v1
	v_and_b32_e32 v16, 7, v1
	s_mov_b32 s13, exec_lo
	s_delay_alu instid0(VALU_DEP_2) | instskip(NEXT) | instid1(VALU_DEP_1)
	v_and_b32_e32 v17, 15, v14
                                        ; implicit-def: $vgpr14
	v_cmpx_lt_i32_e32 14, v17
	s_xor_b32 s13, exec_lo, s13
; %bb.36:                               ;   in Loop: Header=BB3_3 Depth=1
	v_cmp_lt_i16_e64 s2, -1, v1
                                        ; implicit-def: $vgpr17
	s_delay_alu instid0(VALU_DEP_1) | instskip(SKIP_1) | instid1(VALU_DEP_1)
	v_cndmask_b32_e64 v14, 0xff800000, v11, s2
	v_cmp_eq_u32_e64 s2, 0, v16
                                        ; implicit-def: $vgpr16
	v_cndmask_b32_e64 v14, 0x7f800001, v14, s2
; %bb.37:                               ;   in Loop: Header=BB3_3 Depth=1
	s_and_not1_saveexec_b32 s13, s13
	s_cbranch_execz .LBB3_41
; %bb.38:                               ;   in Loop: Header=BB3_3 Depth=1
	s_mov_b32 s14, exec_lo
	v_cmpx_eq_u32_e32 0, v17
; %bb.39:                               ;   in Loop: Header=BB3_3 Depth=1
	v_clz_i32_u32_e32 v14, v16
	v_and_b32_e32 v16, 0xff, v1
	s_delay_alu instid0(VALU_DEP_2) | instskip(NEXT) | instid1(VALU_DEP_1)
	v_subrev_nc_u32_e32 v17, 28, v14
	v_lshlrev_b32_e32 v16, v17, v16
	v_sub_nc_u32_e32 v17, 29, v14
	s_delay_alu instid0(VALU_DEP_2)
	v_and_b32_e32 v16, 7, v16
; %bb.40:                               ;   in Loop: Header=BB3_3 Depth=1
	s_or_b32 exec_lo, exec_lo, s14
	v_bfe_i32 v14, v1, 0, 16
	s_delay_alu instid0(VALU_DEP_2) | instskip(SKIP_1) | instid1(VALU_DEP_3)
	v_lshlrev_b32_e32 v16, 20, v16
	v_lshl_add_u32 v17, v17, 23, 0x3c000000
	v_and_b32_e32 v14, 0x80000000, v14
	s_delay_alu instid0(VALU_DEP_1)
	v_or3_b32 v14, v14, v17, v16
.LBB3_41:                               ;   in Loop: Header=BB3_3 Depth=1
	s_or_b32 exec_lo, exec_lo, s13
.LBB3_42:                               ;   in Loop: Header=BB3_3 Depth=1
	s_delay_alu instid0(SALU_CYCLE_1)
	s_or_b32 exec_lo, exec_lo, s12
.LBB3_43:                               ;   in Loop: Header=BB3_3 Depth=1
	s_delay_alu instid0(SALU_CYCLE_1) | instskip(SKIP_3) | instid1(VALU_DEP_2)
	s_or_b32 exec_lo, exec_lo, s11
	v_dual_mov_b32 v17, 0 :: v_dual_and_b32 v18, 0xff, v6
	v_mov_b32_e32 v16, 0
	s_mov_b32 s11, exec_lo
	v_cmpx_ne_u16_e32 0, v18
	s_cbranch_execz .LBB3_53
; %bb.44:                               ;   in Loop: Header=BB3_3 Depth=1
	v_bfrev_b32_e32 v17, 1
	s_mov_b32 s12, exec_lo
	v_cmpx_ne_u16_e32 0x80, v18
	s_cbranch_execz .LBB3_52
; %bb.45:                               ;   in Loop: Header=BB3_3 Depth=1
	v_lshrrev_b16 v17, 3, v6
	v_and_b32_e32 v19, 7, v6
	s_mov_b32 s13, exec_lo
	s_delay_alu instid0(VALU_DEP_2) | instskip(NEXT) | instid1(VALU_DEP_1)
	v_and_b32_e32 v20, 15, v17
                                        ; implicit-def: $vgpr17
	v_cmpx_lt_i32_e32 14, v20
	s_xor_b32 s13, exec_lo, s13
; %bb.46:                               ;   in Loop: Header=BB3_3 Depth=1
	v_bfe_i32 v17, v6, 0, 8
                                        ; implicit-def: $vgpr20
                                        ; implicit-def: $vgpr18
	s_delay_alu instid0(VALU_DEP_1) | instskip(NEXT) | instid1(VALU_DEP_1)
	v_cmp_lt_i16_e64 s2, -1, v17
	v_cndmask_b32_e64 v17, 0xff800000, v11, s2
	v_cmp_eq_u32_e64 s2, 0, v19
                                        ; implicit-def: $vgpr19
	s_delay_alu instid0(VALU_DEP_1)
	v_cndmask_b32_e64 v17, 0x7f800001, v17, s2
; %bb.47:                               ;   in Loop: Header=BB3_3 Depth=1
	s_and_not1_saveexec_b32 s13, s13
	s_cbranch_execz .LBB3_51
; %bb.48:                               ;   in Loop: Header=BB3_3 Depth=1
	s_mov_b32 s14, exec_lo
	v_cmpx_eq_u32_e32 0, v20
; %bb.49:                               ;   in Loop: Header=BB3_3 Depth=1
	v_clz_i32_u32_e32 v17, v19
	s_delay_alu instid0(VALU_DEP_1) | instskip(SKIP_1) | instid1(VALU_DEP_2)
	v_subrev_nc_u32_e32 v19, 28, v17
	v_sub_nc_u32_e32 v20, 29, v17
	v_lshlrev_b32_e32 v18, v19, v18
	s_delay_alu instid0(VALU_DEP_1)
	v_and_b32_e32 v19, 7, v18
; %bb.50:                               ;   in Loop: Header=BB3_3 Depth=1
	s_or_b32 exec_lo, exec_lo, s14
	v_lshlrev_b32_e32 v17, 24, v6
	s_delay_alu instid0(VALU_DEP_2) | instskip(SKIP_1) | instid1(VALU_DEP_3)
	v_lshlrev_b32_e32 v18, 20, v19
	v_lshl_add_u32 v19, v20, 23, 0x3c000000
	v_and_b32_e32 v17, 0x80000000, v17
	s_delay_alu instid0(VALU_DEP_1)
	v_or3_b32 v17, v17, v19, v18
.LBB3_51:                               ;   in Loop: Header=BB3_3 Depth=1
	s_or_b32 exec_lo, exec_lo, s13
.LBB3_52:                               ;   in Loop: Header=BB3_3 Depth=1
	s_delay_alu instid0(SALU_CYCLE_1)
	s_or_b32 exec_lo, exec_lo, s12
.LBB3_53:                               ;   in Loop: Header=BB3_3 Depth=1
	s_delay_alu instid0(SALU_CYCLE_1)
	s_or_b32 exec_lo, exec_lo, s11
	s_and_saveexec_b32 s11, vcc_lo
	s_cbranch_execz .LBB3_63
; %bb.54:                               ;   in Loop: Header=BB3_3 Depth=1
	v_bfrev_b32_e32 v16, 1
	s_mov_b32 s12, exec_lo
	v_cmpx_ne_u16_e32 0xff80, v1
	s_cbranch_execz .LBB3_62
; %bb.55:                               ;   in Loop: Header=BB3_3 Depth=1
	v_lshrrev_b16 v16, 3, v1
	v_and_b32_e32 v18, 7, v1
	s_mov_b32 s13, exec_lo
	s_delay_alu instid0(VALU_DEP_2) | instskip(NEXT) | instid1(VALU_DEP_1)
	v_and_b32_e32 v19, 15, v16
                                        ; implicit-def: $vgpr16
	v_cmpx_lt_i32_e32 14, v19
	s_xor_b32 s13, exec_lo, s13
; %bb.56:                               ;   in Loop: Header=BB3_3 Depth=1
	v_cmp_lt_i16_e64 s2, -1, v1
                                        ; implicit-def: $vgpr19
	s_delay_alu instid0(VALU_DEP_1) | instskip(SKIP_1) | instid1(VALU_DEP_1)
	v_cndmask_b32_e64 v16, 0xff800000, v11, s2
	v_cmp_eq_u32_e64 s2, 0, v18
                                        ; implicit-def: $vgpr18
	v_cndmask_b32_e64 v16, 0x7f800001, v16, s2
; %bb.57:                               ;   in Loop: Header=BB3_3 Depth=1
	s_and_not1_saveexec_b32 s13, s13
	s_cbranch_execz .LBB3_61
; %bb.58:                               ;   in Loop: Header=BB3_3 Depth=1
	s_mov_b32 s14, exec_lo
	v_cmpx_eq_u32_e32 0, v19
; %bb.59:                               ;   in Loop: Header=BB3_3 Depth=1
	v_clz_i32_u32_e32 v16, v18
	v_and_b32_e32 v18, 0xff, v1
	s_delay_alu instid0(VALU_DEP_2) | instskip(NEXT) | instid1(VALU_DEP_1)
	v_subrev_nc_u32_e32 v19, 28, v16
	v_lshlrev_b32_e32 v18, v19, v18
	v_sub_nc_u32_e32 v19, 29, v16
	s_delay_alu instid0(VALU_DEP_2)
	v_and_b32_e32 v18, 7, v18
; %bb.60:                               ;   in Loop: Header=BB3_3 Depth=1
	s_or_b32 exec_lo, exec_lo, s14
	v_bfe_i32 v16, v1, 0, 16
	s_delay_alu instid0(VALU_DEP_2) | instskip(SKIP_1) | instid1(VALU_DEP_3)
	v_lshlrev_b32_e32 v18, 20, v18
	v_lshl_add_u32 v19, v19, 23, 0x3c000000
	v_and_b32_e32 v16, 0x80000000, v16
	s_delay_alu instid0(VALU_DEP_1)
	v_or3_b32 v16, v16, v19, v18
.LBB3_61:                               ;   in Loop: Header=BB3_3 Depth=1
	s_or_b32 exec_lo, exec_lo, s13
.LBB3_62:                               ;   in Loop: Header=BB3_3 Depth=1
	s_delay_alu instid0(SALU_CYCLE_1)
	s_or_b32 exec_lo, exec_lo, s12
.LBB3_63:                               ;   in Loop: Header=BB3_3 Depth=1
	s_delay_alu instid0(SALU_CYCLE_1) | instskip(NEXT) | instid1(SALU_CYCLE_1)
	s_or_b32 exec_lo, exec_lo, s11
	s_mov_b32 s11, exec_lo
	v_cmpx_eq_f32_e32 0, v13
	s_cbranch_execz .LBB3_65
; %bb.64:                               ;   in Loop: Header=BB3_3 Depth=1
	global_store_b32 v2, v10, s[6:7] offset:16
.LBB3_65:                               ;   in Loop: Header=BB3_3 Depth=1
	s_or_b32 exec_lo, exec_lo, s11
	v_mov_b32_e32 v18, 0
	s_and_saveexec_b32 s11, vcc_lo
	s_cbranch_execz .LBB3_75
; %bb.66:                               ;   in Loop: Header=BB3_3 Depth=1
	v_bfrev_b32_e32 v18, 1
	s_mov_b32 s12, exec_lo
	v_cmpx_ne_u16_e32 0xff80, v1
	s_cbranch_execz .LBB3_74
; %bb.67:                               ;   in Loop: Header=BB3_3 Depth=1
	v_lshrrev_b16 v18, 3, v1
	v_and_b32_e32 v19, 7, v1
	s_mov_b32 s13, exec_lo
	s_delay_alu instid0(VALU_DEP_2) | instskip(NEXT) | instid1(VALU_DEP_1)
	v_and_b32_e32 v20, 15, v18
                                        ; implicit-def: $vgpr18
	v_cmpx_lt_i32_e32 14, v20
	s_xor_b32 s13, exec_lo, s13
; %bb.68:                               ;   in Loop: Header=BB3_3 Depth=1
	v_cmp_lt_i16_e64 s2, -1, v1
                                        ; implicit-def: $vgpr20
	s_delay_alu instid0(VALU_DEP_1) | instskip(SKIP_1) | instid1(VALU_DEP_1)
	v_cndmask_b32_e64 v18, 0xff800000, v11, s2
	v_cmp_eq_u32_e64 s2, 0, v19
                                        ; implicit-def: $vgpr19
	v_cndmask_b32_e64 v18, 0x7f800001, v18, s2
; %bb.69:                               ;   in Loop: Header=BB3_3 Depth=1
	s_and_not1_saveexec_b32 s13, s13
	s_cbranch_execz .LBB3_73
; %bb.70:                               ;   in Loop: Header=BB3_3 Depth=1
	s_mov_b32 s14, exec_lo
	v_cmpx_eq_u32_e32 0, v20
; %bb.71:                               ;   in Loop: Header=BB3_3 Depth=1
	v_clz_i32_u32_e32 v18, v19
	v_and_b32_e32 v19, 0xff, v1
	s_delay_alu instid0(VALU_DEP_2) | instskip(NEXT) | instid1(VALU_DEP_1)
	v_subrev_nc_u32_e32 v20, 28, v18
	v_lshlrev_b32_e32 v19, v20, v19
	v_sub_nc_u32_e32 v20, 29, v18
	s_delay_alu instid0(VALU_DEP_2)
	v_and_b32_e32 v19, 7, v19
; %bb.72:                               ;   in Loop: Header=BB3_3 Depth=1
	s_or_b32 exec_lo, exec_lo, s14
	v_bfe_i32 v18, v1, 0, 16
	s_delay_alu instid0(VALU_DEP_2) | instskip(SKIP_1) | instid1(VALU_DEP_3)
	v_lshlrev_b32_e32 v19, 20, v19
	v_lshl_add_u32 v20, v20, 23, 0x3c000000
	v_and_b32_e32 v18, 0x80000000, v18
	s_delay_alu instid0(VALU_DEP_1)
	v_or3_b32 v18, v18, v20, v19
.LBB3_73:                               ;   in Loop: Header=BB3_3 Depth=1
	s_or_b32 exec_lo, exec_lo, s13
.LBB3_74:                               ;   in Loop: Header=BB3_3 Depth=1
	s_delay_alu instid0(SALU_CYCLE_1)
	s_or_b32 exec_lo, exec_lo, s12
.LBB3_75:                               ;   in Loop: Header=BB3_3 Depth=1
	s_delay_alu instid0(SALU_CYCLE_1) | instskip(NEXT) | instid1(SALU_CYCLE_1)
	s_or_b32 exec_lo, exec_lo, s11
	s_mov_b32 s11, exec_lo
	v_cmpx_u_f32_e32 v18, v18
	s_cbranch_execnz .LBB3_78
; %bb.76:                               ;   in Loop: Header=BB3_3 Depth=1
	s_or_b32 exec_lo, exec_lo, s11
	v_mov_b32_e32 v18, 0
	s_and_saveexec_b32 s2, vcc_lo
	s_cbranch_execnz .LBB3_79
.LBB3_77:                               ;   in Loop: Header=BB3_3 Depth=1
	s_or_b32 exec_lo, exec_lo, s2
	s_delay_alu instid0(VALU_DEP_1) | instskip(NEXT) | instid1(VALU_DEP_1)
	v_cmp_class_f32_e64 s11, v18, 0x204
	s_and_saveexec_b32 s2, s11
	s_cbranch_execz .LBB3_2
	s_branch .LBB3_88
.LBB3_78:                               ;   in Loop: Header=BB3_3 Depth=1
	global_store_b32 v2, v10, s[6:7] offset:20
	s_or_b32 exec_lo, exec_lo, s11
	v_mov_b32_e32 v18, 0
	s_and_saveexec_b32 s2, vcc_lo
	s_cbranch_execz .LBB3_77
.LBB3_79:                               ;   in Loop: Header=BB3_3 Depth=1
	v_bfrev_b32_e32 v18, 1
	s_mov_b32 s11, exec_lo
	v_cmpx_ne_u16_e32 0xff80, v1
	s_cbranch_execz .LBB3_87
; %bb.80:                               ;   in Loop: Header=BB3_3 Depth=1
	v_lshrrev_b16 v18, 3, v1
	v_and_b32_e32 v19, 7, v1
	s_mov_b32 s12, exec_lo
	s_delay_alu instid0(VALU_DEP_2) | instskip(NEXT) | instid1(VALU_DEP_1)
	v_and_b32_e32 v20, 15, v18
                                        ; implicit-def: $vgpr18
	v_cmpx_lt_i32_e32 14, v20
	s_xor_b32 s12, exec_lo, s12
; %bb.81:                               ;   in Loop: Header=BB3_3 Depth=1
	v_cmp_lt_i16_e32 vcc_lo, -1, v1
                                        ; implicit-def: $vgpr20
	v_cndmask_b32_e32 v18, 0xff800000, v11, vcc_lo
	v_cmp_eq_u32_e32 vcc_lo, 0, v19
                                        ; implicit-def: $vgpr19
	s_delay_alu instid0(VALU_DEP_2)
	v_cndmask_b32_e32 v18, 0x7f800001, v18, vcc_lo
; %bb.82:                               ;   in Loop: Header=BB3_3 Depth=1
	s_and_not1_saveexec_b32 s12, s12
	s_cbranch_execz .LBB3_86
; %bb.83:                               ;   in Loop: Header=BB3_3 Depth=1
	s_mov_b32 s13, exec_lo
	v_cmpx_eq_u32_e32 0, v20
; %bb.84:                               ;   in Loop: Header=BB3_3 Depth=1
	v_clz_i32_u32_e32 v18, v19
	v_and_b32_e32 v19, 0xff, v1
	s_delay_alu instid0(VALU_DEP_2) | instskip(NEXT) | instid1(VALU_DEP_1)
	v_subrev_nc_u32_e32 v20, 28, v18
	v_lshlrev_b32_e32 v19, v20, v19
	v_sub_nc_u32_e32 v20, 29, v18
	s_delay_alu instid0(VALU_DEP_2)
	v_and_b32_e32 v19, 7, v19
; %bb.85:                               ;   in Loop: Header=BB3_3 Depth=1
	s_or_b32 exec_lo, exec_lo, s13
	v_bfe_i32 v18, v1, 0, 16
	s_delay_alu instid0(VALU_DEP_2) | instskip(SKIP_1) | instid1(VALU_DEP_3)
	v_lshlrev_b32_e32 v19, 20, v19
	v_lshl_add_u32 v20, v20, 23, 0x3c000000
	v_and_b32_e32 v18, 0x80000000, v18
	s_delay_alu instid0(VALU_DEP_1)
	v_or3_b32 v18, v18, v20, v19
.LBB3_86:                               ;   in Loop: Header=BB3_3 Depth=1
	s_or_b32 exec_lo, exec_lo, s12
.LBB3_87:                               ;   in Loop: Header=BB3_3 Depth=1
	s_delay_alu instid0(SALU_CYCLE_1) | instskip(NEXT) | instid1(SALU_CYCLE_1)
	s_or_b32 exec_lo, exec_lo, s11
	s_or_b32 exec_lo, exec_lo, s2
	s_delay_alu instid0(VALU_DEP_1) | instskip(NEXT) | instid1(VALU_DEP_1)
	v_cmp_class_f32_e64 s11, v18, 0x204
	s_and_saveexec_b32 s2, s11
	s_cbranch_execz .LBB3_2
.LBB3_88:                               ;   in Loop: Header=BB3_3 Depth=1
	global_store_b32 v2, v10, s[6:7] offset:24
	s_branch .LBB3_2
.LBB3_89:
	s_or_b32 exec_lo, exec_lo, s10
	v_mov_b32_e32 v2, v8
.LBB3_90:
	s_or_b32 exec_lo, exec_lo, s3
	s_load_b32 s0, s[0:1], 0x18
	s_waitcnt lgkmcnt(0)
	s_bitcmp1_b32 s0, 0
	s_cselect_b32 s0, -1, 0
	s_delay_alu instid0(SALU_CYCLE_1)
	s_and_b32 vcc_lo, exec_lo, s0
	s_cbranch_vccz .LBB3_142
; %bb.91:
	v_dual_mov_b32 v4, 0 :: v_dual_and_b32 v5, 0xff, v7
	v_dual_mov_b32 v8, 0 :: v_dual_lshlrev_b32 v1, 4, v0
	s_mov_b32 s0, exec_lo
	ds_store_b64 v1, v[2:3]
	v_cmpx_ne_u16_e32 0, v5
	s_cbranch_execz .LBB3_101
; %bb.92:
	v_bfrev_b32_e32 v8, 1
	s_mov_b32 s1, exec_lo
	v_cmpx_ne_u16_e32 0x80, v5
	s_cbranch_execz .LBB3_100
; %bb.93:
	v_lshrrev_b16 v2, 3, v7
	s_mov_b32 s2, exec_lo
                                        ; implicit-def: $vgpr8
	s_delay_alu instid0(VALU_DEP_1) | instskip(SKIP_1) | instid1(VALU_DEP_2)
	v_and_b32_e32 v3, 15, v2
	v_and_b32_e32 v2, 7, v7
	v_cmpx_lt_i32_e32 14, v3
	s_xor_b32 s2, exec_lo, s2
; %bb.94:
	v_bfe_i32 v3, v7, 0, 8
	v_mov_b32_e32 v5, 0x7f800000
                                        ; implicit-def: $vgpr7
	s_delay_alu instid0(VALU_DEP_2) | instskip(NEXT) | instid1(VALU_DEP_2)
	v_cmp_lt_i16_e32 vcc_lo, -1, v3
	v_cndmask_b32_e32 v3, 0xff800000, v5, vcc_lo
	v_cmp_eq_u32_e32 vcc_lo, 0, v2
                                        ; implicit-def: $vgpr2
                                        ; implicit-def: $vgpr5
	s_delay_alu instid0(VALU_DEP_2)
	v_cndmask_b32_e32 v8, 0x7f800001, v3, vcc_lo
                                        ; implicit-def: $vgpr3
; %bb.95:
	s_and_not1_saveexec_b32 s2, s2
	s_cbranch_execz .LBB3_99
; %bb.96:
	s_mov_b32 s3, exec_lo
	v_cmpx_eq_u32_e32 0, v3
; %bb.97:
	v_clz_i32_u32_e32 v2, v2
	s_delay_alu instid0(VALU_DEP_1) | instskip(NEXT) | instid1(VALU_DEP_1)
	v_subrev_nc_u32_e32 v3, 28, v2
	v_lshlrev_b32_e32 v5, v3, v5
	v_sub_nc_u32_e32 v3, 29, v2
	s_delay_alu instid0(VALU_DEP_2)
	v_and_b32_e32 v2, 7, v5
; %bb.98:
	s_or_b32 exec_lo, exec_lo, s3
	v_lshlrev_b32_e32 v5, 24, v7
	s_delay_alu instid0(VALU_DEP_2) | instskip(SKIP_1) | instid1(VALU_DEP_3)
	v_lshlrev_b32_e32 v2, 20, v2
	v_lshl_add_u32 v3, v3, 23, 0x3c000000
	v_and_b32_e32 v5, 0x80000000, v5
	s_delay_alu instid0(VALU_DEP_1)
	v_or3_b32 v8, v5, v3, v2
.LBB3_99:
	s_or_b32 exec_lo, exec_lo, s2
.LBB3_100:
	s_delay_alu instid0(SALU_CYCLE_1)
	s_or_b32 exec_lo, exec_lo, s1
.LBB3_101:
	s_delay_alu instid0(SALU_CYCLE_1)
	s_or_b32 exec_lo, exec_lo, s0
	v_and_b32_e32 v2, 0xff, v6
	s_mov_b32 s0, exec_lo
	ds_store_b32 v1, v8 offset:8
	v_cmpx_ne_u16_e32 0, v2
	s_cbranch_execz .LBB3_111
; %bb.102:
	v_bfrev_b32_e32 v4, 1
	s_mov_b32 s1, exec_lo
	v_cmpx_ne_u16_e32 0x80, v2
	s_cbranch_execz .LBB3_110
; %bb.103:
	v_lshrrev_b16 v3, 3, v6
	s_mov_b32 s2, exec_lo
                                        ; implicit-def: $vgpr4
	s_delay_alu instid0(VALU_DEP_1) | instskip(SKIP_1) | instid1(VALU_DEP_2)
	v_and_b32_e32 v5, 15, v3
	v_and_b32_e32 v3, 7, v6
	v_cmpx_lt_i32_e32 14, v5
	s_xor_b32 s2, exec_lo, s2
; %bb.104:
	v_bfe_i32 v2, v6, 0, 8
	v_mov_b32_e32 v4, 0x7f800000
                                        ; implicit-def: $vgpr5
                                        ; implicit-def: $vgpr6
	s_delay_alu instid0(VALU_DEP_2) | instskip(NEXT) | instid1(VALU_DEP_2)
	v_cmp_lt_i16_e32 vcc_lo, -1, v2
	v_cndmask_b32_e32 v2, 0xff800000, v4, vcc_lo
	v_cmp_eq_u32_e32 vcc_lo, 0, v3
                                        ; implicit-def: $vgpr3
	s_delay_alu instid0(VALU_DEP_2)
	v_cndmask_b32_e32 v4, 0x7f800001, v2, vcc_lo
                                        ; implicit-def: $vgpr2
; %bb.105:
	s_and_not1_saveexec_b32 s2, s2
	s_cbranch_execz .LBB3_109
; %bb.106:
	s_mov_b32 s3, exec_lo
	v_cmpx_eq_u32_e32 0, v5
; %bb.107:
	v_clz_i32_u32_e32 v3, v3
	s_delay_alu instid0(VALU_DEP_1) | instskip(SKIP_1) | instid1(VALU_DEP_2)
	v_subrev_nc_u32_e32 v4, 28, v3
	v_sub_nc_u32_e32 v5, 29, v3
	v_lshlrev_b32_e32 v2, v4, v2
	s_delay_alu instid0(VALU_DEP_1)
	v_and_b32_e32 v3, 7, v2
; %bb.108:
	s_or_b32 exec_lo, exec_lo, s3
	v_lshlrev_b32_e32 v2, 24, v6
	s_delay_alu instid0(VALU_DEP_2) | instskip(SKIP_1) | instid1(VALU_DEP_3)
	v_lshlrev_b32_e32 v3, 20, v3
	v_lshl_add_u32 v4, v5, 23, 0x3c000000
	v_and_b32_e32 v2, 0x80000000, v2
	s_delay_alu instid0(VALU_DEP_1)
	v_or3_b32 v4, v2, v4, v3
.LBB3_109:
	s_or_b32 exec_lo, exec_lo, s2
.LBB3_110:
	s_delay_alu instid0(SALU_CYCLE_1)
	s_or_b32 exec_lo, exec_lo, s1
.LBB3_111:
	s_delay_alu instid0(SALU_CYCLE_1) | instskip(NEXT) | instid1(SALU_CYCLE_1)
	s_or_b32 exec_lo, exec_lo, s0
	s_mov_b32 s0, exec_lo
	ds_store_b32 v1, v4 offset:12
	s_waitcnt lgkmcnt(0)
	s_waitcnt_vscnt null, 0x0
	s_barrier
	buffer_gl0_inv
	v_cmpx_gt_u32_e32 0x80, v0
	s_cbranch_execz .LBB3_113
; %bb.112:
	ds_load_b128 v[2:5], v1 offset:2048
	ds_load_b128 v[6:9], v1
	s_waitcnt lgkmcnt(1)
	v_dual_max_f32 v4, v4, v4 :: v_dual_max_f32 v5, v5, v5
	s_waitcnt lgkmcnt(0)
	v_dual_max_f32 v8, v8, v8 :: v_dual_max_f32 v9, v9, v9
	v_dual_add_f32 v2, v2, v6 :: v_dual_add_f32 v3, v3, v7
	s_delay_alu instid0(VALU_DEP_2)
	v_dual_min_f32 v4, v8, v4 :: v_dual_max_f32 v5, v9, v5
	ds_store_b128 v1, v[2:5]
.LBB3_113:
	s_or_b32 exec_lo, exec_lo, s0
	s_delay_alu instid0(SALU_CYCLE_1)
	s_mov_b32 s0, exec_lo
	s_waitcnt lgkmcnt(0)
	s_barrier
	buffer_gl0_inv
	v_cmpx_gt_u32_e32 64, v0
	s_cbranch_execz .LBB3_115
; %bb.114:
	ds_load_b128 v[2:5], v1 offset:1024
	ds_load_b128 v[6:9], v1
	s_waitcnt lgkmcnt(1)
	v_dual_max_f32 v4, v4, v4 :: v_dual_max_f32 v5, v5, v5
	s_waitcnt lgkmcnt(0)
	v_dual_max_f32 v8, v8, v8 :: v_dual_max_f32 v9, v9, v9
	v_dual_add_f32 v2, v2, v6 :: v_dual_add_f32 v3, v3, v7
	s_delay_alu instid0(VALU_DEP_2)
	v_dual_min_f32 v4, v8, v4 :: v_dual_max_f32 v5, v9, v5
	ds_store_b128 v1, v[2:5]
.LBB3_115:
	s_or_b32 exec_lo, exec_lo, s0
	s_delay_alu instid0(SALU_CYCLE_1)
	s_mov_b32 s0, exec_lo
	s_waitcnt lgkmcnt(0)
	;; [unrolled: 20-line block ×6, first 2 shown]
	s_barrier
	buffer_gl0_inv
	v_cmpx_gt_u32_e32 2, v0
	s_cbranch_execz .LBB3_125
; %bb.124:
	ds_load_b128 v[2:5], v1 offset:32
	ds_load_b128 v[6:9], v1
	s_waitcnt lgkmcnt(1)
	v_dual_max_f32 v4, v4, v4 :: v_dual_max_f32 v5, v5, v5
	s_waitcnt lgkmcnt(0)
	v_dual_max_f32 v8, v8, v8 :: v_dual_max_f32 v9, v9, v9
	v_dual_add_f32 v2, v2, v6 :: v_dual_add_f32 v3, v3, v7
	s_delay_alu instid0(VALU_DEP_2)
	v_dual_min_f32 v4, v8, v4 :: v_dual_max_f32 v5, v9, v5
	ds_store_b128 v1, v[2:5]
.LBB3_125:
	s_or_b32 exec_lo, exec_lo, s0
	v_cmp_eq_u32_e32 vcc_lo, 0, v0
	s_waitcnt lgkmcnt(0)
	s_barrier
	buffer_gl0_inv
	s_and_saveexec_b32 s0, vcc_lo
	s_cbranch_execz .LBB3_127
; %bb.126:
	ds_load_b128 v[2:5], v1 offset:16
	ds_load_b128 v[6:9], v1
	s_waitcnt lgkmcnt(1)
	v_dual_max_f32 v0, v4, v4 :: v_dual_max_f32 v5, v5, v5
	s_waitcnt lgkmcnt(0)
	v_dual_max_f32 v4, v8, v8 :: v_dual_add_f32 v3, v3, v7
	v_max_f32_e32 v8, v9, v9
	v_add_f32_e32 v2, v2, v6
	s_delay_alu instid0(VALU_DEP_3) | instskip(NEXT) | instid1(VALU_DEP_3)
	v_min_f32_e32 v4, v4, v0
	v_max_f32_e32 v5, v8, v5
	ds_store_b128 v1, v[2:5]
.LBB3_127:
	s_or_b32 exec_lo, exec_lo, s0
	s_waitcnt lgkmcnt(0)
	s_barrier
	buffer_gl0_inv
	s_and_saveexec_b32 s0, vcc_lo
	s_cbranch_execz .LBB3_142
; %bb.128:
	s_mov_b32 s2, exec_lo
	s_mov_b32 s1, 0
	v_mbcnt_lo_u32_b32 v0, s2, 0
	s_mov_b32 s0, exec_lo
	s_delay_alu instid0(VALU_DEP_1)
	v_cmpx_eq_u32_e32 0, v0
	s_cbranch_execz .LBB3_131
; %bb.129:
	s_bcnt1_i32_b32 s2, s2
	s_load_b32 s3, s[6:7], 0x0
	v_cvt_f32_ubyte0_e32 v1, s2
	v_mov_b32_e32 v2, 0
	ds_load_b32 v0, v2
	s_waitcnt lgkmcnt(0)
	v_mul_f32_e32 v3, v0, v1
	v_mov_b32_e32 v1, s3
.LBB3_130:                              ; =>This Inner Loop Header: Depth=1
	s_delay_alu instid0(VALU_DEP_1)
	v_add_f32_e32 v0, v1, v3
	global_atomic_cmpswap_b32 v0, v2, v[0:1], s[6:7] glc
	s_waitcnt vmcnt(0)
	v_cmp_eq_u32_e32 vcc_lo, v0, v1
	v_mov_b32_e32 v1, v0
	s_or_b32 s1, vcc_lo, s1
	s_delay_alu instid0(SALU_CYCLE_1)
	s_and_not1_b32 exec_lo, exec_lo, s1
	s_cbranch_execnz .LBB3_130
.LBB3_131:
	s_or_b32 exec_lo, exec_lo, s0
	s_delay_alu instid0(SALU_CYCLE_1) | instskip(SKIP_3) | instid1(VALU_DEP_1)
	s_mov_b32 s2, exec_lo
	s_mov_b32 s1, 0
	v_mbcnt_lo_u32_b32 v0, s2, 0
	s_mov_b32 s0, exec_lo
	v_cmpx_eq_u32_e32 0, v0
	s_cbranch_execz .LBB3_134
; %bb.132:
	s_bcnt1_i32_b32 s2, s2
	s_load_b32 s3, s[6:7], 0x4
	v_cvt_f32_ubyte0_e32 v1, s2
	v_mov_b32_e32 v2, 0
	ds_load_b32 v0, v2 offset:4
	s_waitcnt lgkmcnt(0)
	v_mul_f32_e32 v3, v0, v1
	v_mov_b32_e32 v1, s3
.LBB3_133:                              ; =>This Inner Loop Header: Depth=1
	s_delay_alu instid0(VALU_DEP_1)
	v_add_f32_e32 v0, v1, v3
	global_atomic_cmpswap_b32 v0, v2, v[0:1], s[6:7] offset:4 glc
	s_waitcnt vmcnt(0)
	v_cmp_eq_u32_e32 vcc_lo, v0, v1
	v_mov_b32_e32 v1, v0
	s_or_b32 s1, vcc_lo, s1
	s_delay_alu instid0(SALU_CYCLE_1)
	s_and_not1_b32 exec_lo, exec_lo, s1
	s_cbranch_execnz .LBB3_133
.LBB3_134:
	s_or_b32 exec_lo, exec_lo, s0
	v_mov_b32_e32 v2, 0
	s_mov_b32 s1, 0
                                        ; implicit-def: $sgpr3
	ds_load_b32 v0, v2 offset:8
	global_load_b32 v1, v2, s[6:7] offset:8 glc
	s_waitcnt lgkmcnt(0)
	v_readfirstlane_b32 s0, v0
	s_delay_alu instid0(VALU_DEP_1)
	s_cmp_eq_u32 s0, 0x80000000
	s_cselect_b32 s2, -1, 0
	s_branch .LBB3_136
	.p2align	6
.LBB3_135:                              ;   in Loop: Header=BB3_136 Depth=1
	s_or_b32 exec_lo, exec_lo, s0
	s_delay_alu instid0(SALU_CYCLE_1) | instskip(NEXT) | instid1(SALU_CYCLE_1)
	s_and_b32 s0, exec_lo, s3
	s_or_b32 s1, s0, s1
	s_delay_alu instid0(SALU_CYCLE_1)
	s_and_not1_b32 exec_lo, exec_lo, s1
	s_cbranch_execz .LBB3_138
.LBB3_136:                              ; =>This Inner Loop Header: Depth=1
	s_waitcnt vmcnt(0)
	v_cmp_eq_f32_e32 vcc_lo, 0, v1
	v_cmp_lt_f32_e64 s0, v0, v1
	s_or_b32 s3, s3, exec_lo
	s_and_b32 s4, s2, vcc_lo
	s_delay_alu instid0(VALU_DEP_1) | instid1(SALU_CYCLE_1)
	s_or_b32 s4, s0, s4
	s_delay_alu instid0(SALU_CYCLE_1)
	s_and_saveexec_b32 s0, s4
	s_cbranch_execz .LBB3_135
; %bb.137:                              ;   in Loop: Header=BB3_136 Depth=1
	global_atomic_cmpswap_b32 v3, v2, v[0:1], s[6:7] offset:8 glc
	s_and_not1_b32 s3, s3, exec_lo
	s_waitcnt vmcnt(0)
	v_cmp_eq_u32_e32 vcc_lo, v3, v1
	v_mov_b32_e32 v1, v3
	s_and_b32 s4, vcc_lo, exec_lo
	s_delay_alu instid0(SALU_CYCLE_1)
	s_or_b32 s3, s3, s4
	s_branch .LBB3_135
.LBB3_138:
	s_or_b32 exec_lo, exec_lo, s1
	v_mov_b32_e32 v2, 0
	s_mov_b32 s1, 0
                                        ; implicit-def: $sgpr2
                                        ; implicit-def: $sgpr3
	ds_load_b32 v0, v2 offset:12
	global_load_b32 v1, v2, s[6:7] offset:12 glc
	s_waitcnt lgkmcnt(0)
	v_cmp_eq_f32_e32 vcc_lo, 0, v0
	s_waitcnt vmcnt(0)
	v_cmp_eq_u32_e64 s4, 0x80000000, v1
	s_set_inst_prefetch_distance 0x1
	s_branch .LBB3_140
	.p2align	6
.LBB3_139:                              ;   in Loop: Header=BB3_140 Depth=1
	s_or_b32 exec_lo, exec_lo, s5
	s_delay_alu instid0(SALU_CYCLE_1) | instskip(NEXT) | instid1(SALU_CYCLE_1)
	s_and_b32 s0, exec_lo, s2
	s_or_b32 s1, s0, s1
	s_and_not1_b32 s0, s4, exec_lo
	s_and_b32 s4, s3, exec_lo
	s_delay_alu instid0(SALU_CYCLE_1)
	s_or_b32 s4, s0, s4
	s_and_not1_b32 exec_lo, exec_lo, s1
	s_cbranch_execz .LBB3_142
.LBB3_140:                              ; =>This Inner Loop Header: Depth=1
	v_cmp_lt_f32_e64 s0, v1, v0
	s_delay_alu instid0(VALU_DEP_2) | instskip(SKIP_2) | instid1(VALU_DEP_1)
	s_and_b32 s5, vcc_lo, s4
	s_and_not1_b32 s3, s3, exec_lo
	s_or_b32 s2, s2, exec_lo
	s_or_b32 s0, s0, s5
	s_delay_alu instid0(SALU_CYCLE_1)
	s_and_saveexec_b32 s5, s0
	s_cbranch_execz .LBB3_139
; %bb.141:                              ;   in Loop: Header=BB3_140 Depth=1
	global_atomic_cmpswap_b32 v3, v2, v[0:1], s[6:7] offset:12 glc
	s_and_not1_b32 s3, s3, exec_lo
	s_and_not1_b32 s2, s2, exec_lo
	s_waitcnt vmcnt(0)
	v_cmp_eq_u32_e64 s0, v3, v1
	s_delay_alu instid0(VALU_DEP_1) | instskip(SKIP_1) | instid1(SALU_CYCLE_1)
	v_cndmask_b32_e64 v1, v3, v1, s0
	s_and_b32 s0, s0, exec_lo
	s_or_b32 s2, s2, s0
	s_delay_alu instid0(VALU_DEP_1) | instskip(SKIP_1) | instid1(VALU_DEP_2)
	v_cmp_class_f32_e64 s4, v1, 32
	v_mov_b32_e32 v1, v3
	s_and_b32 s4, s4, exec_lo
	s_delay_alu instid0(SALU_CYCLE_1)
	s_or_b32 s3, s3, s4
                                        ; implicit-def: $sgpr4
	s_branch .LBB3_139
.LBB3_142:
	s_set_inst_prefetch_distance 0x2
	s_nop 0
	s_sendmsg sendmsg(MSG_DEALLOC_VGPRS)
	s_endpgm
	.section	.rodata,"a",@progbits
	.p2align	6, 0x0
	.amdhsa_kernel check_numerics_fp8
		.amdhsa_group_segment_fixed_size 4096
		.amdhsa_private_segment_fixed_size 0
		.amdhsa_kernarg_size 288
		.amdhsa_user_sgpr_count 15
		.amdhsa_user_sgpr_dispatch_ptr 0
		.amdhsa_user_sgpr_queue_ptr 0
		.amdhsa_user_sgpr_kernarg_segment_ptr 1
		.amdhsa_user_sgpr_dispatch_id 0
		.amdhsa_user_sgpr_private_segment_size 0
		.amdhsa_wavefront_size32 1
		.amdhsa_uses_dynamic_stack 0
		.amdhsa_enable_private_segment 0
		.amdhsa_system_sgpr_workgroup_id_x 1
		.amdhsa_system_sgpr_workgroup_id_y 0
		.amdhsa_system_sgpr_workgroup_id_z 0
		.amdhsa_system_sgpr_workgroup_info 0
		.amdhsa_system_vgpr_workitem_id 0
		.amdhsa_next_free_vgpr 21
		.amdhsa_next_free_sgpr 16
		.amdhsa_reserve_vcc 1
		.amdhsa_float_round_mode_32 0
		.amdhsa_float_round_mode_16_64 0
		.amdhsa_float_denorm_mode_32 3
		.amdhsa_float_denorm_mode_16_64 3
		.amdhsa_dx10_clamp 1
		.amdhsa_ieee_mode 1
		.amdhsa_fp16_overflow 0
		.amdhsa_workgroup_processor_mode 1
		.amdhsa_memory_ordered 1
		.amdhsa_forward_progress 0
		.amdhsa_shared_vgpr_count 0
		.amdhsa_exception_fp_ieee_invalid_op 0
		.amdhsa_exception_fp_denorm_src 0
		.amdhsa_exception_fp_ieee_div_zero 0
		.amdhsa_exception_fp_ieee_overflow 0
		.amdhsa_exception_fp_ieee_underflow 0
		.amdhsa_exception_fp_ieee_inexact 0
		.amdhsa_exception_int_div_zero 0
	.end_amdhsa_kernel
	.text
.Lfunc_end3:
	.size	check_numerics_fp8, .Lfunc_end3-check_numerics_fp8
                                        ; -- End function
	.section	.AMDGPU.csdata,"",@progbits
; Kernel info:
; codeLenInByte = 4320
; NumSgprs: 18
; NumVgprs: 21
; ScratchSize: 0
; MemoryBound: 0
; FloatMode: 240
; IeeeMode: 1
; LDSByteSize: 4096 bytes/workgroup (compile time only)
; SGPRBlocks: 2
; VGPRBlocks: 2
; NumSGPRsForWavesPerEU: 18
; NumVGPRsForWavesPerEU: 21
; Occupancy: 16
; WaveLimiterHint : 0
; COMPUTE_PGM_RSRC2:SCRATCH_EN: 0
; COMPUTE_PGM_RSRC2:USER_SGPR: 15
; COMPUTE_PGM_RSRC2:TRAP_HANDLER: 0
; COMPUTE_PGM_RSRC2:TGID_X_EN: 1
; COMPUTE_PGM_RSRC2:TGID_Y_EN: 0
; COMPUTE_PGM_RSRC2:TGID_Z_EN: 0
; COMPUTE_PGM_RSRC2:TIDIG_COMP_CNT: 0
	.text
	.protected	check_numerics_bf8      ; -- Begin function check_numerics_bf8
	.globl	check_numerics_bf8
	.p2align	8
	.type	check_numerics_bf8,@function
check_numerics_bf8:                     ; @check_numerics_bf8
; %bb.0:
	s_load_b32 s2, s[0:1], 0x20
	s_add_u32 s3, s0, 32
	s_addc_u32 s5, s1, 0
	v_dual_mov_b32 v2, 0 :: v_dual_mov_b32 v7, 0x7b
	s_mov_b32 s10, 0
	s_waitcnt lgkmcnt(0)
	s_cmp_lt_u32 s15, s2
	s_cselect_b32 s4, 12, 18
	s_delay_alu instid0(SALU_CYCLE_1)
	s_add_u32 s4, s3, s4
	s_addc_u32 s5, s5, 0
	s_mov_b32 s3, exec_lo
	global_load_u16 v4, v2, s[4:5]
	s_load_b128 s[4:7], s[0:1], 0x8
	s_waitcnt vmcnt(0)
	v_mad_u64_u32 v[5:6], null, s15, v4, v[0:1]
	s_delay_alu instid0(VALU_DEP_1) | instskip(SKIP_2) | instid1(VALU_DEP_2)
	v_dual_mov_b32 v6, 4 :: v_dual_mov_b32 v1, v5
	v_mov_b32_e32 v3, v2
	s_waitcnt lgkmcnt(0)
	v_cmpx_gt_u64_e64 s[4:5], v[1:2]
	s_cbranch_execz .LBB4_90
; %bb.1:
	s_load_b64 s[8:9], s[0:1], 0x0
	v_mul_lo_u32 v9, s2, v4
	v_dual_mov_b32 v8, 0 :: v_dual_mov_b32 v7, 0x7b
	v_dual_mov_b32 v6, 4 :: v_dual_mov_b32 v11, 0x7f800000
	;; [unrolled: 1-line block ×4, first 2 shown]
	s_branch .LBB4_3
.LBB4_2:                                ;   in Loop: Header=BB4_3 Depth=1
	s_or_b32 exec_lo, exec_lo, s2
	v_add_co_u32 v4, vcc_lo, v4, v9
	v_add_co_ci_u32_e32 v5, vcc_lo, 0, v5, vcc_lo
	v_cmp_gt_f32_e32 vcc_lo, v17, v16
	v_cmp_lt_f32_e64 s2, v15, v14
	v_add_f32_e64 v3, v3, |v13|
	v_add_f32_e32 v8, v8, v12
	v_cndmask_b32_e32 v6, v1, v6, vcc_lo
	v_cmp_le_u64_e32 vcc_lo, s[4:5], v[4:5]
	v_cndmask_b32_e64 v7, v1, v7, s2
	s_or_b32 s10, vcc_lo, s10
	s_delay_alu instid0(SALU_CYCLE_1)
	s_and_not1_b32 exec_lo, exec_lo, s10
	s_cbranch_execz .LBB4_89
.LBB4_3:                                ; =>This Inner Loop Header: Depth=1
	s_waitcnt lgkmcnt(0)
	s_delay_alu instid0(VALU_DEP_1) | instskip(NEXT) | instid1(VALU_DEP_2)
	v_add_co_u32 v12, vcc_lo, s8, v4
	v_add_co_ci_u32_e32 v13, vcc_lo, s9, v5, vcc_lo
	global_load_i8 v1, v[12:13], off
	v_mov_b32_e32 v12, 0
	s_waitcnt vmcnt(0)
	v_cmp_ne_u16_e32 vcc_lo, 0, v1
	s_and_saveexec_b32 s11, vcc_lo
	s_cbranch_execz .LBB4_13
; %bb.4:                                ;   in Loop: Header=BB4_3 Depth=1
	v_bfrev_b32_e32 v12, 1
	s_mov_b32 s12, exec_lo
	v_cmpx_ne_u16_e32 0xff80, v1
	s_cbranch_execz .LBB4_12
; %bb.5:                                ;   in Loop: Header=BB4_3 Depth=1
	v_lshrrev_b16 v12, 2, v1
	v_and_b32_e32 v13, 3, v1
	s_mov_b32 s13, exec_lo
	s_delay_alu instid0(VALU_DEP_2) | instskip(NEXT) | instid1(VALU_DEP_1)
	v_and_b32_e32 v14, 31, v12
                                        ; implicit-def: $vgpr12
	v_cmpx_lt_i32_e32 30, v14
	s_xor_b32 s13, exec_lo, s13
; %bb.6:                                ;   in Loop: Header=BB4_3 Depth=1
	v_cmp_lt_i16_e64 s2, -1, v1
                                        ; implicit-def: $vgpr14
	s_delay_alu instid0(VALU_DEP_1) | instskip(SKIP_1) | instid1(VALU_DEP_1)
	v_cndmask_b32_e64 v12, 0xff800000, v11, s2
	v_cmp_eq_u32_e64 s2, 0, v13
                                        ; implicit-def: $vgpr13
	v_cndmask_b32_e64 v12, 0x7f800001, v12, s2
; %bb.7:                                ;   in Loop: Header=BB4_3 Depth=1
	s_and_not1_saveexec_b32 s13, s13
	s_cbranch_execz .LBB4_11
; %bb.8:                                ;   in Loop: Header=BB4_3 Depth=1
	s_mov_b32 s14, exec_lo
	v_cmpx_eq_u32_e32 0, v14
; %bb.9:                                ;   in Loop: Header=BB4_3 Depth=1
	v_clz_i32_u32_e32 v12, v13
	v_and_b32_e32 v13, 0xff, v1
	s_delay_alu instid0(VALU_DEP_2) | instskip(NEXT) | instid1(VALU_DEP_1)
	v_subrev_nc_u32_e32 v14, 29, v12
	v_lshlrev_b32_e32 v13, v14, v13
	v_sub_nc_u32_e32 v14, 30, v12
	s_delay_alu instid0(VALU_DEP_2)
	v_and_b32_e32 v13, 3, v13
; %bb.10:                               ;   in Loop: Header=BB4_3 Depth=1
	s_or_b32 exec_lo, exec_lo, s14
	v_bfe_i32 v12, v1, 0, 16
	s_delay_alu instid0(VALU_DEP_2) | instskip(SKIP_1) | instid1(VALU_DEP_3)
	v_lshlrev_b32_e32 v13, 21, v13
	v_lshl_add_u32 v14, v14, 23, 0x38000000
	v_and_b32_e32 v12, 0x80000000, v12
	s_delay_alu instid0(VALU_DEP_1)
	v_or3_b32 v12, v12, v14, v13
.LBB4_11:                               ;   in Loop: Header=BB4_3 Depth=1
	s_or_b32 exec_lo, exec_lo, s13
.LBB4_12:                               ;   in Loop: Header=BB4_3 Depth=1
	s_delay_alu instid0(SALU_CYCLE_1)
	s_or_b32 exec_lo, exec_lo, s12
.LBB4_13:                               ;   in Loop: Header=BB4_3 Depth=1
	s_delay_alu instid0(SALU_CYCLE_1)
	s_or_b32 exec_lo, exec_lo, s11
	v_mov_b32_e32 v13, 0
	s_and_saveexec_b32 s11, vcc_lo
	s_cbranch_execz .LBB4_23
; %bb.14:                               ;   in Loop: Header=BB4_3 Depth=1
	v_bfrev_b32_e32 v13, 1
	s_mov_b32 s12, exec_lo
	v_cmpx_ne_u16_e32 0xff80, v1
	s_cbranch_execz .LBB4_22
; %bb.15:                               ;   in Loop: Header=BB4_3 Depth=1
	v_lshrrev_b16 v13, 2, v1
	v_and_b32_e32 v14, 3, v1
	s_mov_b32 s13, exec_lo
	s_delay_alu instid0(VALU_DEP_2) | instskip(NEXT) | instid1(VALU_DEP_1)
	v_and_b32_e32 v15, 31, v13
                                        ; implicit-def: $vgpr13
	v_cmpx_lt_i32_e32 30, v15
	s_xor_b32 s13, exec_lo, s13
; %bb.16:                               ;   in Loop: Header=BB4_3 Depth=1
	v_cmp_lt_i16_e64 s2, -1, v1
                                        ; implicit-def: $vgpr15
	s_delay_alu instid0(VALU_DEP_1) | instskip(SKIP_1) | instid1(VALU_DEP_1)
	v_cndmask_b32_e64 v13, 0xff800000, v11, s2
	v_cmp_eq_u32_e64 s2, 0, v14
                                        ; implicit-def: $vgpr14
	v_cndmask_b32_e64 v13, 0x7f800001, v13, s2
; %bb.17:                               ;   in Loop: Header=BB4_3 Depth=1
	s_and_not1_saveexec_b32 s13, s13
	s_cbranch_execz .LBB4_21
; %bb.18:                               ;   in Loop: Header=BB4_3 Depth=1
	s_mov_b32 s14, exec_lo
	v_cmpx_eq_u32_e32 0, v15
; %bb.19:                               ;   in Loop: Header=BB4_3 Depth=1
	v_clz_i32_u32_e32 v13, v14
	v_and_b32_e32 v14, 0xff, v1
	s_delay_alu instid0(VALU_DEP_2) | instskip(NEXT) | instid1(VALU_DEP_1)
	v_subrev_nc_u32_e32 v15, 29, v13
	v_lshlrev_b32_e32 v14, v15, v14
	v_sub_nc_u32_e32 v15, 30, v13
	s_delay_alu instid0(VALU_DEP_2)
	v_and_b32_e32 v14, 3, v14
; %bb.20:                               ;   in Loop: Header=BB4_3 Depth=1
	s_or_b32 exec_lo, exec_lo, s14
	v_bfe_i32 v13, v1, 0, 16
	s_delay_alu instid0(VALU_DEP_2) | instskip(SKIP_1) | instid1(VALU_DEP_3)
	v_lshlrev_b32_e32 v14, 21, v14
	v_lshl_add_u32 v15, v15, 23, 0x38000000
	v_and_b32_e32 v13, 0x80000000, v13
	s_delay_alu instid0(VALU_DEP_1)
	v_or3_b32 v13, v13, v15, v14
.LBB4_21:                               ;   in Loop: Header=BB4_3 Depth=1
	s_or_b32 exec_lo, exec_lo, s13
.LBB4_22:                               ;   in Loop: Header=BB4_3 Depth=1
	s_delay_alu instid0(SALU_CYCLE_1)
	s_or_b32 exec_lo, exec_lo, s12
.LBB4_23:                               ;   in Loop: Header=BB4_3 Depth=1
	s_delay_alu instid0(SALU_CYCLE_1) | instskip(SKIP_3) | instid1(VALU_DEP_2)
	s_or_b32 exec_lo, exec_lo, s11
	v_dual_mov_b32 v15, 0 :: v_dual_and_b32 v16, 0xff, v7
	v_mov_b32_e32 v14, 0
	s_mov_b32 s11, exec_lo
	v_cmpx_ne_u16_e32 0, v16
	s_cbranch_execz .LBB4_33
; %bb.24:                               ;   in Loop: Header=BB4_3 Depth=1
	v_bfrev_b32_e32 v15, 1
	s_mov_b32 s12, exec_lo
	v_cmpx_ne_u16_e32 0x80, v16
	s_cbranch_execz .LBB4_32
; %bb.25:                               ;   in Loop: Header=BB4_3 Depth=1
	v_lshrrev_b16 v15, 2, v7
	v_and_b32_e32 v17, 3, v7
	s_mov_b32 s13, exec_lo
	s_delay_alu instid0(VALU_DEP_2) | instskip(NEXT) | instid1(VALU_DEP_1)
	v_and_b32_e32 v18, 31, v15
                                        ; implicit-def: $vgpr15
	v_cmpx_lt_i32_e32 30, v18
	s_xor_b32 s13, exec_lo, s13
; %bb.26:                               ;   in Loop: Header=BB4_3 Depth=1
	v_bfe_i32 v15, v7, 0, 8
                                        ; implicit-def: $vgpr18
                                        ; implicit-def: $vgpr16
	s_delay_alu instid0(VALU_DEP_1) | instskip(NEXT) | instid1(VALU_DEP_1)
	v_cmp_lt_i16_e64 s2, -1, v15
	v_cndmask_b32_e64 v15, 0xff800000, v11, s2
	v_cmp_eq_u32_e64 s2, 0, v17
                                        ; implicit-def: $vgpr17
	s_delay_alu instid0(VALU_DEP_1)
	v_cndmask_b32_e64 v15, 0x7f800001, v15, s2
; %bb.27:                               ;   in Loop: Header=BB4_3 Depth=1
	s_and_not1_saveexec_b32 s13, s13
	s_cbranch_execz .LBB4_31
; %bb.28:                               ;   in Loop: Header=BB4_3 Depth=1
	s_mov_b32 s14, exec_lo
	v_cmpx_eq_u32_e32 0, v18
; %bb.29:                               ;   in Loop: Header=BB4_3 Depth=1
	v_clz_i32_u32_e32 v15, v17
	s_delay_alu instid0(VALU_DEP_1) | instskip(SKIP_1) | instid1(VALU_DEP_2)
	v_subrev_nc_u32_e32 v17, 29, v15
	v_sub_nc_u32_e32 v18, 30, v15
	v_lshlrev_b32_e32 v16, v17, v16
	s_delay_alu instid0(VALU_DEP_1)
	v_and_b32_e32 v17, 3, v16
; %bb.30:                               ;   in Loop: Header=BB4_3 Depth=1
	s_or_b32 exec_lo, exec_lo, s14
	v_lshlrev_b32_e32 v15, 24, v7
	s_delay_alu instid0(VALU_DEP_2) | instskip(SKIP_1) | instid1(VALU_DEP_3)
	v_lshlrev_b32_e32 v16, 21, v17
	v_lshl_add_u32 v17, v18, 23, 0x38000000
	v_and_b32_e32 v15, 0x80000000, v15
	s_delay_alu instid0(VALU_DEP_1)
	v_or3_b32 v15, v15, v17, v16
.LBB4_31:                               ;   in Loop: Header=BB4_3 Depth=1
	s_or_b32 exec_lo, exec_lo, s13
.LBB4_32:                               ;   in Loop: Header=BB4_3 Depth=1
	s_delay_alu instid0(SALU_CYCLE_1)
	s_or_b32 exec_lo, exec_lo, s12
.LBB4_33:                               ;   in Loop: Header=BB4_3 Depth=1
	s_delay_alu instid0(SALU_CYCLE_1)
	s_or_b32 exec_lo, exec_lo, s11
	s_and_saveexec_b32 s11, vcc_lo
	s_cbranch_execz .LBB4_43
; %bb.34:                               ;   in Loop: Header=BB4_3 Depth=1
	v_bfrev_b32_e32 v14, 1
	s_mov_b32 s12, exec_lo
	v_cmpx_ne_u16_e32 0xff80, v1
	s_cbranch_execz .LBB4_42
; %bb.35:                               ;   in Loop: Header=BB4_3 Depth=1
	v_lshrrev_b16 v14, 2, v1
	v_and_b32_e32 v16, 3, v1
	s_mov_b32 s13, exec_lo
	s_delay_alu instid0(VALU_DEP_2) | instskip(NEXT) | instid1(VALU_DEP_1)
	v_and_b32_e32 v17, 31, v14
                                        ; implicit-def: $vgpr14
	v_cmpx_lt_i32_e32 30, v17
	s_xor_b32 s13, exec_lo, s13
; %bb.36:                               ;   in Loop: Header=BB4_3 Depth=1
	v_cmp_lt_i16_e64 s2, -1, v1
                                        ; implicit-def: $vgpr17
	s_delay_alu instid0(VALU_DEP_1) | instskip(SKIP_1) | instid1(VALU_DEP_1)
	v_cndmask_b32_e64 v14, 0xff800000, v11, s2
	v_cmp_eq_u32_e64 s2, 0, v16
                                        ; implicit-def: $vgpr16
	v_cndmask_b32_e64 v14, 0x7f800001, v14, s2
; %bb.37:                               ;   in Loop: Header=BB4_3 Depth=1
	s_and_not1_saveexec_b32 s13, s13
	s_cbranch_execz .LBB4_41
; %bb.38:                               ;   in Loop: Header=BB4_3 Depth=1
	s_mov_b32 s14, exec_lo
	v_cmpx_eq_u32_e32 0, v17
; %bb.39:                               ;   in Loop: Header=BB4_3 Depth=1
	v_clz_i32_u32_e32 v14, v16
	v_and_b32_e32 v16, 0xff, v1
	s_delay_alu instid0(VALU_DEP_2) | instskip(NEXT) | instid1(VALU_DEP_1)
	v_subrev_nc_u32_e32 v17, 29, v14
	v_lshlrev_b32_e32 v16, v17, v16
	v_sub_nc_u32_e32 v17, 30, v14
	s_delay_alu instid0(VALU_DEP_2)
	v_and_b32_e32 v16, 3, v16
; %bb.40:                               ;   in Loop: Header=BB4_3 Depth=1
	s_or_b32 exec_lo, exec_lo, s14
	v_bfe_i32 v14, v1, 0, 16
	s_delay_alu instid0(VALU_DEP_2) | instskip(SKIP_1) | instid1(VALU_DEP_3)
	v_lshlrev_b32_e32 v16, 21, v16
	v_lshl_add_u32 v17, v17, 23, 0x38000000
	v_and_b32_e32 v14, 0x80000000, v14
	s_delay_alu instid0(VALU_DEP_1)
	v_or3_b32 v14, v14, v17, v16
.LBB4_41:                               ;   in Loop: Header=BB4_3 Depth=1
	s_or_b32 exec_lo, exec_lo, s13
.LBB4_42:                               ;   in Loop: Header=BB4_3 Depth=1
	s_delay_alu instid0(SALU_CYCLE_1)
	s_or_b32 exec_lo, exec_lo, s12
.LBB4_43:                               ;   in Loop: Header=BB4_3 Depth=1
	s_delay_alu instid0(SALU_CYCLE_1) | instskip(SKIP_3) | instid1(VALU_DEP_2)
	s_or_b32 exec_lo, exec_lo, s11
	v_dual_mov_b32 v17, 0 :: v_dual_and_b32 v18, 0xff, v6
	v_mov_b32_e32 v16, 0
	s_mov_b32 s11, exec_lo
	v_cmpx_ne_u16_e32 0, v18
	s_cbranch_execz .LBB4_53
; %bb.44:                               ;   in Loop: Header=BB4_3 Depth=1
	v_bfrev_b32_e32 v17, 1
	s_mov_b32 s12, exec_lo
	v_cmpx_ne_u16_e32 0x80, v18
	s_cbranch_execz .LBB4_52
; %bb.45:                               ;   in Loop: Header=BB4_3 Depth=1
	v_lshrrev_b16 v17, 2, v6
	v_and_b32_e32 v19, 3, v6
	s_mov_b32 s13, exec_lo
	s_delay_alu instid0(VALU_DEP_2) | instskip(NEXT) | instid1(VALU_DEP_1)
	v_and_b32_e32 v20, 31, v17
                                        ; implicit-def: $vgpr17
	v_cmpx_lt_i32_e32 30, v20
	s_xor_b32 s13, exec_lo, s13
; %bb.46:                               ;   in Loop: Header=BB4_3 Depth=1
	v_bfe_i32 v17, v6, 0, 8
                                        ; implicit-def: $vgpr20
                                        ; implicit-def: $vgpr18
	s_delay_alu instid0(VALU_DEP_1) | instskip(NEXT) | instid1(VALU_DEP_1)
	v_cmp_lt_i16_e64 s2, -1, v17
	v_cndmask_b32_e64 v17, 0xff800000, v11, s2
	v_cmp_eq_u32_e64 s2, 0, v19
                                        ; implicit-def: $vgpr19
	s_delay_alu instid0(VALU_DEP_1)
	v_cndmask_b32_e64 v17, 0x7f800001, v17, s2
; %bb.47:                               ;   in Loop: Header=BB4_3 Depth=1
	s_and_not1_saveexec_b32 s13, s13
	s_cbranch_execz .LBB4_51
; %bb.48:                               ;   in Loop: Header=BB4_3 Depth=1
	s_mov_b32 s14, exec_lo
	v_cmpx_eq_u32_e32 0, v20
; %bb.49:                               ;   in Loop: Header=BB4_3 Depth=1
	v_clz_i32_u32_e32 v17, v19
	s_delay_alu instid0(VALU_DEP_1) | instskip(SKIP_1) | instid1(VALU_DEP_2)
	v_subrev_nc_u32_e32 v19, 29, v17
	v_sub_nc_u32_e32 v20, 30, v17
	v_lshlrev_b32_e32 v18, v19, v18
	s_delay_alu instid0(VALU_DEP_1)
	v_and_b32_e32 v19, 3, v18
; %bb.50:                               ;   in Loop: Header=BB4_3 Depth=1
	s_or_b32 exec_lo, exec_lo, s14
	v_lshlrev_b32_e32 v17, 24, v6
	s_delay_alu instid0(VALU_DEP_2) | instskip(SKIP_1) | instid1(VALU_DEP_3)
	v_lshlrev_b32_e32 v18, 21, v19
	v_lshl_add_u32 v19, v20, 23, 0x38000000
	v_and_b32_e32 v17, 0x80000000, v17
	s_delay_alu instid0(VALU_DEP_1)
	v_or3_b32 v17, v17, v19, v18
.LBB4_51:                               ;   in Loop: Header=BB4_3 Depth=1
	s_or_b32 exec_lo, exec_lo, s13
.LBB4_52:                               ;   in Loop: Header=BB4_3 Depth=1
	s_delay_alu instid0(SALU_CYCLE_1)
	s_or_b32 exec_lo, exec_lo, s12
.LBB4_53:                               ;   in Loop: Header=BB4_3 Depth=1
	s_delay_alu instid0(SALU_CYCLE_1)
	s_or_b32 exec_lo, exec_lo, s11
	s_and_saveexec_b32 s11, vcc_lo
	s_cbranch_execz .LBB4_63
; %bb.54:                               ;   in Loop: Header=BB4_3 Depth=1
	v_bfrev_b32_e32 v16, 1
	s_mov_b32 s12, exec_lo
	v_cmpx_ne_u16_e32 0xff80, v1
	s_cbranch_execz .LBB4_62
; %bb.55:                               ;   in Loop: Header=BB4_3 Depth=1
	v_lshrrev_b16 v16, 2, v1
	v_and_b32_e32 v18, 3, v1
	s_mov_b32 s13, exec_lo
	s_delay_alu instid0(VALU_DEP_2) | instskip(NEXT) | instid1(VALU_DEP_1)
	v_and_b32_e32 v19, 31, v16
                                        ; implicit-def: $vgpr16
	v_cmpx_lt_i32_e32 30, v19
	s_xor_b32 s13, exec_lo, s13
; %bb.56:                               ;   in Loop: Header=BB4_3 Depth=1
	v_cmp_lt_i16_e64 s2, -1, v1
                                        ; implicit-def: $vgpr19
	s_delay_alu instid0(VALU_DEP_1) | instskip(SKIP_1) | instid1(VALU_DEP_1)
	v_cndmask_b32_e64 v16, 0xff800000, v11, s2
	v_cmp_eq_u32_e64 s2, 0, v18
                                        ; implicit-def: $vgpr18
	v_cndmask_b32_e64 v16, 0x7f800001, v16, s2
; %bb.57:                               ;   in Loop: Header=BB4_3 Depth=1
	s_and_not1_saveexec_b32 s13, s13
	s_cbranch_execz .LBB4_61
; %bb.58:                               ;   in Loop: Header=BB4_3 Depth=1
	s_mov_b32 s14, exec_lo
	v_cmpx_eq_u32_e32 0, v19
; %bb.59:                               ;   in Loop: Header=BB4_3 Depth=1
	v_clz_i32_u32_e32 v16, v18
	v_and_b32_e32 v18, 0xff, v1
	s_delay_alu instid0(VALU_DEP_2) | instskip(NEXT) | instid1(VALU_DEP_1)
	v_subrev_nc_u32_e32 v19, 29, v16
	v_lshlrev_b32_e32 v18, v19, v18
	v_sub_nc_u32_e32 v19, 30, v16
	s_delay_alu instid0(VALU_DEP_2)
	v_and_b32_e32 v18, 3, v18
; %bb.60:                               ;   in Loop: Header=BB4_3 Depth=1
	s_or_b32 exec_lo, exec_lo, s14
	v_bfe_i32 v16, v1, 0, 16
	s_delay_alu instid0(VALU_DEP_2) | instskip(SKIP_1) | instid1(VALU_DEP_3)
	v_lshlrev_b32_e32 v18, 21, v18
	v_lshl_add_u32 v19, v19, 23, 0x38000000
	v_and_b32_e32 v16, 0x80000000, v16
	s_delay_alu instid0(VALU_DEP_1)
	v_or3_b32 v16, v16, v19, v18
.LBB4_61:                               ;   in Loop: Header=BB4_3 Depth=1
	s_or_b32 exec_lo, exec_lo, s13
.LBB4_62:                               ;   in Loop: Header=BB4_3 Depth=1
	s_delay_alu instid0(SALU_CYCLE_1)
	s_or_b32 exec_lo, exec_lo, s12
.LBB4_63:                               ;   in Loop: Header=BB4_3 Depth=1
	s_delay_alu instid0(SALU_CYCLE_1) | instskip(NEXT) | instid1(SALU_CYCLE_1)
	s_or_b32 exec_lo, exec_lo, s11
	s_mov_b32 s11, exec_lo
	v_cmpx_eq_f32_e32 0, v13
	s_cbranch_execz .LBB4_65
; %bb.64:                               ;   in Loop: Header=BB4_3 Depth=1
	global_store_b32 v2, v10, s[6:7] offset:16
.LBB4_65:                               ;   in Loop: Header=BB4_3 Depth=1
	s_or_b32 exec_lo, exec_lo, s11
	v_mov_b32_e32 v18, 0
	s_and_saveexec_b32 s11, vcc_lo
	s_cbranch_execz .LBB4_75
; %bb.66:                               ;   in Loop: Header=BB4_3 Depth=1
	v_bfrev_b32_e32 v18, 1
	s_mov_b32 s12, exec_lo
	v_cmpx_ne_u16_e32 0xff80, v1
	s_cbranch_execz .LBB4_74
; %bb.67:                               ;   in Loop: Header=BB4_3 Depth=1
	v_lshrrev_b16 v18, 2, v1
	v_and_b32_e32 v19, 3, v1
	s_mov_b32 s13, exec_lo
	s_delay_alu instid0(VALU_DEP_2) | instskip(NEXT) | instid1(VALU_DEP_1)
	v_and_b32_e32 v20, 31, v18
                                        ; implicit-def: $vgpr18
	v_cmpx_lt_i32_e32 30, v20
	s_xor_b32 s13, exec_lo, s13
; %bb.68:                               ;   in Loop: Header=BB4_3 Depth=1
	v_cmp_lt_i16_e64 s2, -1, v1
                                        ; implicit-def: $vgpr20
	s_delay_alu instid0(VALU_DEP_1) | instskip(SKIP_1) | instid1(VALU_DEP_1)
	v_cndmask_b32_e64 v18, 0xff800000, v11, s2
	v_cmp_eq_u32_e64 s2, 0, v19
                                        ; implicit-def: $vgpr19
	v_cndmask_b32_e64 v18, 0x7f800001, v18, s2
; %bb.69:                               ;   in Loop: Header=BB4_3 Depth=1
	s_and_not1_saveexec_b32 s13, s13
	s_cbranch_execz .LBB4_73
; %bb.70:                               ;   in Loop: Header=BB4_3 Depth=1
	s_mov_b32 s14, exec_lo
	v_cmpx_eq_u32_e32 0, v20
; %bb.71:                               ;   in Loop: Header=BB4_3 Depth=1
	v_clz_i32_u32_e32 v18, v19
	v_and_b32_e32 v19, 0xff, v1
	s_delay_alu instid0(VALU_DEP_2) | instskip(NEXT) | instid1(VALU_DEP_1)
	v_subrev_nc_u32_e32 v20, 29, v18
	v_lshlrev_b32_e32 v19, v20, v19
	v_sub_nc_u32_e32 v20, 30, v18
	s_delay_alu instid0(VALU_DEP_2)
	v_and_b32_e32 v19, 3, v19
; %bb.72:                               ;   in Loop: Header=BB4_3 Depth=1
	s_or_b32 exec_lo, exec_lo, s14
	v_bfe_i32 v18, v1, 0, 16
	s_delay_alu instid0(VALU_DEP_2) | instskip(SKIP_1) | instid1(VALU_DEP_3)
	v_lshlrev_b32_e32 v19, 21, v19
	v_lshl_add_u32 v20, v20, 23, 0x38000000
	v_and_b32_e32 v18, 0x80000000, v18
	s_delay_alu instid0(VALU_DEP_1)
	v_or3_b32 v18, v18, v20, v19
.LBB4_73:                               ;   in Loop: Header=BB4_3 Depth=1
	s_or_b32 exec_lo, exec_lo, s13
.LBB4_74:                               ;   in Loop: Header=BB4_3 Depth=1
	s_delay_alu instid0(SALU_CYCLE_1)
	s_or_b32 exec_lo, exec_lo, s12
.LBB4_75:                               ;   in Loop: Header=BB4_3 Depth=1
	s_delay_alu instid0(SALU_CYCLE_1) | instskip(NEXT) | instid1(SALU_CYCLE_1)
	s_or_b32 exec_lo, exec_lo, s11
	s_mov_b32 s11, exec_lo
	v_cmpx_u_f32_e32 v18, v18
	s_cbranch_execnz .LBB4_78
; %bb.76:                               ;   in Loop: Header=BB4_3 Depth=1
	s_or_b32 exec_lo, exec_lo, s11
	v_mov_b32_e32 v18, 0
	s_and_saveexec_b32 s2, vcc_lo
	s_cbranch_execnz .LBB4_79
.LBB4_77:                               ;   in Loop: Header=BB4_3 Depth=1
	s_or_b32 exec_lo, exec_lo, s2
	s_delay_alu instid0(VALU_DEP_1) | instskip(NEXT) | instid1(VALU_DEP_1)
	v_cmp_class_f32_e64 s11, v18, 0x204
	s_and_saveexec_b32 s2, s11
	s_cbranch_execz .LBB4_2
	s_branch .LBB4_88
.LBB4_78:                               ;   in Loop: Header=BB4_3 Depth=1
	global_store_b32 v2, v10, s[6:7] offset:20
	s_or_b32 exec_lo, exec_lo, s11
	v_mov_b32_e32 v18, 0
	s_and_saveexec_b32 s2, vcc_lo
	s_cbranch_execz .LBB4_77
.LBB4_79:                               ;   in Loop: Header=BB4_3 Depth=1
	v_bfrev_b32_e32 v18, 1
	s_mov_b32 s11, exec_lo
	v_cmpx_ne_u16_e32 0xff80, v1
	s_cbranch_execz .LBB4_87
; %bb.80:                               ;   in Loop: Header=BB4_3 Depth=1
	v_lshrrev_b16 v18, 2, v1
	v_and_b32_e32 v19, 3, v1
	s_mov_b32 s12, exec_lo
	s_delay_alu instid0(VALU_DEP_2) | instskip(NEXT) | instid1(VALU_DEP_1)
	v_and_b32_e32 v20, 31, v18
                                        ; implicit-def: $vgpr18
	v_cmpx_lt_i32_e32 30, v20
	s_xor_b32 s12, exec_lo, s12
; %bb.81:                               ;   in Loop: Header=BB4_3 Depth=1
	v_cmp_lt_i16_e32 vcc_lo, -1, v1
                                        ; implicit-def: $vgpr20
	v_cndmask_b32_e32 v18, 0xff800000, v11, vcc_lo
	v_cmp_eq_u32_e32 vcc_lo, 0, v19
                                        ; implicit-def: $vgpr19
	s_delay_alu instid0(VALU_DEP_2)
	v_cndmask_b32_e32 v18, 0x7f800001, v18, vcc_lo
; %bb.82:                               ;   in Loop: Header=BB4_3 Depth=1
	s_and_not1_saveexec_b32 s12, s12
	s_cbranch_execz .LBB4_86
; %bb.83:                               ;   in Loop: Header=BB4_3 Depth=1
	s_mov_b32 s13, exec_lo
	v_cmpx_eq_u32_e32 0, v20
; %bb.84:                               ;   in Loop: Header=BB4_3 Depth=1
	v_clz_i32_u32_e32 v18, v19
	v_and_b32_e32 v19, 0xff, v1
	s_delay_alu instid0(VALU_DEP_2) | instskip(NEXT) | instid1(VALU_DEP_1)
	v_subrev_nc_u32_e32 v20, 29, v18
	v_lshlrev_b32_e32 v19, v20, v19
	v_sub_nc_u32_e32 v20, 30, v18
	s_delay_alu instid0(VALU_DEP_2)
	v_and_b32_e32 v19, 3, v19
; %bb.85:                               ;   in Loop: Header=BB4_3 Depth=1
	s_or_b32 exec_lo, exec_lo, s13
	v_bfe_i32 v18, v1, 0, 16
	s_delay_alu instid0(VALU_DEP_2) | instskip(SKIP_1) | instid1(VALU_DEP_3)
	v_lshlrev_b32_e32 v19, 21, v19
	v_lshl_add_u32 v20, v20, 23, 0x38000000
	v_and_b32_e32 v18, 0x80000000, v18
	s_delay_alu instid0(VALU_DEP_1)
	v_or3_b32 v18, v18, v20, v19
.LBB4_86:                               ;   in Loop: Header=BB4_3 Depth=1
	s_or_b32 exec_lo, exec_lo, s12
.LBB4_87:                               ;   in Loop: Header=BB4_3 Depth=1
	s_delay_alu instid0(SALU_CYCLE_1) | instskip(NEXT) | instid1(SALU_CYCLE_1)
	s_or_b32 exec_lo, exec_lo, s11
	s_or_b32 exec_lo, exec_lo, s2
	s_delay_alu instid0(VALU_DEP_1) | instskip(NEXT) | instid1(VALU_DEP_1)
	v_cmp_class_f32_e64 s11, v18, 0x204
	s_and_saveexec_b32 s2, s11
	s_cbranch_execz .LBB4_2
.LBB4_88:                               ;   in Loop: Header=BB4_3 Depth=1
	global_store_b32 v2, v10, s[6:7] offset:24
	s_branch .LBB4_2
.LBB4_89:
	s_or_b32 exec_lo, exec_lo, s10
	v_mov_b32_e32 v2, v8
.LBB4_90:
	s_or_b32 exec_lo, exec_lo, s3
	s_load_b32 s0, s[0:1], 0x18
	s_waitcnt lgkmcnt(0)
	s_bitcmp1_b32 s0, 0
	s_cselect_b32 s0, -1, 0
	s_delay_alu instid0(SALU_CYCLE_1)
	s_and_b32 vcc_lo, exec_lo, s0
	s_cbranch_vccz .LBB4_142
; %bb.91:
	v_dual_mov_b32 v4, 0 :: v_dual_and_b32 v5, 0xff, v7
	v_dual_mov_b32 v8, 0 :: v_dual_lshlrev_b32 v1, 4, v0
	s_mov_b32 s0, exec_lo
	ds_store_b64 v1, v[2:3]
	v_cmpx_ne_u16_e32 0, v5
	s_cbranch_execz .LBB4_101
; %bb.92:
	v_bfrev_b32_e32 v8, 1
	s_mov_b32 s1, exec_lo
	v_cmpx_ne_u16_e32 0x80, v5
	s_cbranch_execz .LBB4_100
; %bb.93:
	v_lshrrev_b16 v2, 2, v7
	s_mov_b32 s2, exec_lo
                                        ; implicit-def: $vgpr8
	s_delay_alu instid0(VALU_DEP_1) | instskip(SKIP_1) | instid1(VALU_DEP_2)
	v_and_b32_e32 v3, 31, v2
	v_and_b32_e32 v2, 3, v7
	v_cmpx_lt_i32_e32 30, v3
	s_xor_b32 s2, exec_lo, s2
; %bb.94:
	v_bfe_i32 v3, v7, 0, 8
	v_mov_b32_e32 v5, 0x7f800000
                                        ; implicit-def: $vgpr7
	s_delay_alu instid0(VALU_DEP_2) | instskip(NEXT) | instid1(VALU_DEP_2)
	v_cmp_lt_i16_e32 vcc_lo, -1, v3
	v_cndmask_b32_e32 v3, 0xff800000, v5, vcc_lo
	v_cmp_eq_u32_e32 vcc_lo, 0, v2
                                        ; implicit-def: $vgpr2
                                        ; implicit-def: $vgpr5
	s_delay_alu instid0(VALU_DEP_2)
	v_cndmask_b32_e32 v8, 0x7f800001, v3, vcc_lo
                                        ; implicit-def: $vgpr3
; %bb.95:
	s_and_not1_saveexec_b32 s2, s2
	s_cbranch_execz .LBB4_99
; %bb.96:
	s_mov_b32 s3, exec_lo
	v_cmpx_eq_u32_e32 0, v3
; %bb.97:
	v_clz_i32_u32_e32 v2, v2
	s_delay_alu instid0(VALU_DEP_1) | instskip(NEXT) | instid1(VALU_DEP_1)
	v_subrev_nc_u32_e32 v3, 29, v2
	v_lshlrev_b32_e32 v5, v3, v5
	v_sub_nc_u32_e32 v3, 30, v2
	s_delay_alu instid0(VALU_DEP_2)
	v_and_b32_e32 v2, 3, v5
; %bb.98:
	s_or_b32 exec_lo, exec_lo, s3
	v_lshlrev_b32_e32 v5, 24, v7
	s_delay_alu instid0(VALU_DEP_2) | instskip(SKIP_1) | instid1(VALU_DEP_3)
	v_lshlrev_b32_e32 v2, 21, v2
	v_lshl_add_u32 v3, v3, 23, 0x38000000
	v_and_b32_e32 v5, 0x80000000, v5
	s_delay_alu instid0(VALU_DEP_1)
	v_or3_b32 v8, v5, v3, v2
.LBB4_99:
	s_or_b32 exec_lo, exec_lo, s2
.LBB4_100:
	s_delay_alu instid0(SALU_CYCLE_1)
	s_or_b32 exec_lo, exec_lo, s1
.LBB4_101:
	s_delay_alu instid0(SALU_CYCLE_1)
	s_or_b32 exec_lo, exec_lo, s0
	v_and_b32_e32 v2, 0xff, v6
	s_mov_b32 s0, exec_lo
	ds_store_b32 v1, v8 offset:8
	v_cmpx_ne_u16_e32 0, v2
	s_cbranch_execz .LBB4_111
; %bb.102:
	v_bfrev_b32_e32 v4, 1
	s_mov_b32 s1, exec_lo
	v_cmpx_ne_u16_e32 0x80, v2
	s_cbranch_execz .LBB4_110
; %bb.103:
	v_lshrrev_b16 v3, 2, v6
	s_mov_b32 s2, exec_lo
                                        ; implicit-def: $vgpr4
	s_delay_alu instid0(VALU_DEP_1) | instskip(SKIP_1) | instid1(VALU_DEP_2)
	v_and_b32_e32 v5, 31, v3
	v_and_b32_e32 v3, 3, v6
	v_cmpx_lt_i32_e32 30, v5
	s_xor_b32 s2, exec_lo, s2
; %bb.104:
	v_bfe_i32 v2, v6, 0, 8
	v_mov_b32_e32 v4, 0x7f800000
                                        ; implicit-def: $vgpr5
                                        ; implicit-def: $vgpr6
	s_delay_alu instid0(VALU_DEP_2) | instskip(NEXT) | instid1(VALU_DEP_2)
	v_cmp_lt_i16_e32 vcc_lo, -1, v2
	v_cndmask_b32_e32 v2, 0xff800000, v4, vcc_lo
	v_cmp_eq_u32_e32 vcc_lo, 0, v3
                                        ; implicit-def: $vgpr3
	s_delay_alu instid0(VALU_DEP_2)
	v_cndmask_b32_e32 v4, 0x7f800001, v2, vcc_lo
                                        ; implicit-def: $vgpr2
; %bb.105:
	s_and_not1_saveexec_b32 s2, s2
	s_cbranch_execz .LBB4_109
; %bb.106:
	s_mov_b32 s3, exec_lo
	v_cmpx_eq_u32_e32 0, v5
; %bb.107:
	v_clz_i32_u32_e32 v3, v3
	s_delay_alu instid0(VALU_DEP_1) | instskip(SKIP_1) | instid1(VALU_DEP_2)
	v_subrev_nc_u32_e32 v4, 29, v3
	v_sub_nc_u32_e32 v5, 30, v3
	v_lshlrev_b32_e32 v2, v4, v2
	s_delay_alu instid0(VALU_DEP_1)
	v_and_b32_e32 v3, 3, v2
; %bb.108:
	s_or_b32 exec_lo, exec_lo, s3
	v_lshlrev_b32_e32 v2, 24, v6
	s_delay_alu instid0(VALU_DEP_2) | instskip(SKIP_1) | instid1(VALU_DEP_3)
	v_lshlrev_b32_e32 v3, 21, v3
	v_lshl_add_u32 v4, v5, 23, 0x38000000
	v_and_b32_e32 v2, 0x80000000, v2
	s_delay_alu instid0(VALU_DEP_1)
	v_or3_b32 v4, v2, v4, v3
.LBB4_109:
	s_or_b32 exec_lo, exec_lo, s2
.LBB4_110:
	s_delay_alu instid0(SALU_CYCLE_1)
	s_or_b32 exec_lo, exec_lo, s1
.LBB4_111:
	s_delay_alu instid0(SALU_CYCLE_1) | instskip(NEXT) | instid1(SALU_CYCLE_1)
	s_or_b32 exec_lo, exec_lo, s0
	s_mov_b32 s0, exec_lo
	ds_store_b32 v1, v4 offset:12
	s_waitcnt lgkmcnt(0)
	s_waitcnt_vscnt null, 0x0
	s_barrier
	buffer_gl0_inv
	v_cmpx_gt_u32_e32 0x80, v0
	s_cbranch_execz .LBB4_113
; %bb.112:
	ds_load_b128 v[2:5], v1 offset:2048
	ds_load_b128 v[6:9], v1
	s_waitcnt lgkmcnt(1)
	v_dual_max_f32 v4, v4, v4 :: v_dual_max_f32 v5, v5, v5
	s_waitcnt lgkmcnt(0)
	v_dual_max_f32 v8, v8, v8 :: v_dual_max_f32 v9, v9, v9
	v_dual_add_f32 v2, v2, v6 :: v_dual_add_f32 v3, v3, v7
	s_delay_alu instid0(VALU_DEP_2)
	v_dual_min_f32 v4, v8, v4 :: v_dual_max_f32 v5, v9, v5
	ds_store_b128 v1, v[2:5]
.LBB4_113:
	s_or_b32 exec_lo, exec_lo, s0
	s_delay_alu instid0(SALU_CYCLE_1)
	s_mov_b32 s0, exec_lo
	s_waitcnt lgkmcnt(0)
	s_barrier
	buffer_gl0_inv
	v_cmpx_gt_u32_e32 64, v0
	s_cbranch_execz .LBB4_115
; %bb.114:
	ds_load_b128 v[2:5], v1 offset:1024
	ds_load_b128 v[6:9], v1
	s_waitcnt lgkmcnt(1)
	v_dual_max_f32 v4, v4, v4 :: v_dual_max_f32 v5, v5, v5
	s_waitcnt lgkmcnt(0)
	v_dual_max_f32 v8, v8, v8 :: v_dual_max_f32 v9, v9, v9
	v_dual_add_f32 v2, v2, v6 :: v_dual_add_f32 v3, v3, v7
	s_delay_alu instid0(VALU_DEP_2)
	v_dual_min_f32 v4, v8, v4 :: v_dual_max_f32 v5, v9, v5
	ds_store_b128 v1, v[2:5]
.LBB4_115:
	s_or_b32 exec_lo, exec_lo, s0
	s_delay_alu instid0(SALU_CYCLE_1)
	s_mov_b32 s0, exec_lo
	s_waitcnt lgkmcnt(0)
	;; [unrolled: 20-line block ×6, first 2 shown]
	s_barrier
	buffer_gl0_inv
	v_cmpx_gt_u32_e32 2, v0
	s_cbranch_execz .LBB4_125
; %bb.124:
	ds_load_b128 v[2:5], v1 offset:32
	ds_load_b128 v[6:9], v1
	s_waitcnt lgkmcnt(1)
	v_dual_max_f32 v4, v4, v4 :: v_dual_max_f32 v5, v5, v5
	s_waitcnt lgkmcnt(0)
	v_dual_max_f32 v8, v8, v8 :: v_dual_max_f32 v9, v9, v9
	v_dual_add_f32 v2, v2, v6 :: v_dual_add_f32 v3, v3, v7
	s_delay_alu instid0(VALU_DEP_2)
	v_dual_min_f32 v4, v8, v4 :: v_dual_max_f32 v5, v9, v5
	ds_store_b128 v1, v[2:5]
.LBB4_125:
	s_or_b32 exec_lo, exec_lo, s0
	v_cmp_eq_u32_e32 vcc_lo, 0, v0
	s_waitcnt lgkmcnt(0)
	s_barrier
	buffer_gl0_inv
	s_and_saveexec_b32 s0, vcc_lo
	s_cbranch_execz .LBB4_127
; %bb.126:
	ds_load_b128 v[2:5], v1 offset:16
	ds_load_b128 v[6:9], v1
	s_waitcnt lgkmcnt(1)
	v_dual_max_f32 v0, v4, v4 :: v_dual_max_f32 v5, v5, v5
	s_waitcnt lgkmcnt(0)
	v_dual_max_f32 v4, v8, v8 :: v_dual_add_f32 v3, v3, v7
	v_max_f32_e32 v8, v9, v9
	v_add_f32_e32 v2, v2, v6
	s_delay_alu instid0(VALU_DEP_3) | instskip(NEXT) | instid1(VALU_DEP_3)
	v_min_f32_e32 v4, v4, v0
	v_max_f32_e32 v5, v8, v5
	ds_store_b128 v1, v[2:5]
.LBB4_127:
	s_or_b32 exec_lo, exec_lo, s0
	s_waitcnt lgkmcnt(0)
	s_barrier
	buffer_gl0_inv
	s_and_saveexec_b32 s0, vcc_lo
	s_cbranch_execz .LBB4_142
; %bb.128:
	s_mov_b32 s2, exec_lo
	s_mov_b32 s1, 0
	v_mbcnt_lo_u32_b32 v0, s2, 0
	s_mov_b32 s0, exec_lo
	s_delay_alu instid0(VALU_DEP_1)
	v_cmpx_eq_u32_e32 0, v0
	s_cbranch_execz .LBB4_131
; %bb.129:
	s_bcnt1_i32_b32 s2, s2
	s_load_b32 s3, s[6:7], 0x0
	v_cvt_f32_ubyte0_e32 v1, s2
	v_mov_b32_e32 v2, 0
	ds_load_b32 v0, v2
	s_waitcnt lgkmcnt(0)
	v_mul_f32_e32 v3, v0, v1
	v_mov_b32_e32 v1, s3
.LBB4_130:                              ; =>This Inner Loop Header: Depth=1
	s_delay_alu instid0(VALU_DEP_1)
	v_add_f32_e32 v0, v1, v3
	global_atomic_cmpswap_b32 v0, v2, v[0:1], s[6:7] glc
	s_waitcnt vmcnt(0)
	v_cmp_eq_u32_e32 vcc_lo, v0, v1
	v_mov_b32_e32 v1, v0
	s_or_b32 s1, vcc_lo, s1
	s_delay_alu instid0(SALU_CYCLE_1)
	s_and_not1_b32 exec_lo, exec_lo, s1
	s_cbranch_execnz .LBB4_130
.LBB4_131:
	s_or_b32 exec_lo, exec_lo, s0
	s_delay_alu instid0(SALU_CYCLE_1) | instskip(SKIP_3) | instid1(VALU_DEP_1)
	s_mov_b32 s2, exec_lo
	s_mov_b32 s1, 0
	v_mbcnt_lo_u32_b32 v0, s2, 0
	s_mov_b32 s0, exec_lo
	v_cmpx_eq_u32_e32 0, v0
	s_cbranch_execz .LBB4_134
; %bb.132:
	s_bcnt1_i32_b32 s2, s2
	s_load_b32 s3, s[6:7], 0x4
	v_cvt_f32_ubyte0_e32 v1, s2
	v_mov_b32_e32 v2, 0
	ds_load_b32 v0, v2 offset:4
	s_waitcnt lgkmcnt(0)
	v_mul_f32_e32 v3, v0, v1
	v_mov_b32_e32 v1, s3
.LBB4_133:                              ; =>This Inner Loop Header: Depth=1
	s_delay_alu instid0(VALU_DEP_1)
	v_add_f32_e32 v0, v1, v3
	global_atomic_cmpswap_b32 v0, v2, v[0:1], s[6:7] offset:4 glc
	s_waitcnt vmcnt(0)
	v_cmp_eq_u32_e32 vcc_lo, v0, v1
	v_mov_b32_e32 v1, v0
	s_or_b32 s1, vcc_lo, s1
	s_delay_alu instid0(SALU_CYCLE_1)
	s_and_not1_b32 exec_lo, exec_lo, s1
	s_cbranch_execnz .LBB4_133
.LBB4_134:
	s_or_b32 exec_lo, exec_lo, s0
	v_mov_b32_e32 v2, 0
	s_mov_b32 s1, 0
                                        ; implicit-def: $sgpr3
	ds_load_b32 v0, v2 offset:8
	global_load_b32 v1, v2, s[6:7] offset:8 glc
	s_waitcnt lgkmcnt(0)
	v_readfirstlane_b32 s0, v0
	s_delay_alu instid0(VALU_DEP_1)
	s_cmp_eq_u32 s0, 0x80000000
	s_cselect_b32 s2, -1, 0
	s_branch .LBB4_136
	.p2align	6
.LBB4_135:                              ;   in Loop: Header=BB4_136 Depth=1
	s_or_b32 exec_lo, exec_lo, s0
	s_delay_alu instid0(SALU_CYCLE_1) | instskip(NEXT) | instid1(SALU_CYCLE_1)
	s_and_b32 s0, exec_lo, s3
	s_or_b32 s1, s0, s1
	s_delay_alu instid0(SALU_CYCLE_1)
	s_and_not1_b32 exec_lo, exec_lo, s1
	s_cbranch_execz .LBB4_138
.LBB4_136:                              ; =>This Inner Loop Header: Depth=1
	s_waitcnt vmcnt(0)
	v_cmp_eq_f32_e32 vcc_lo, 0, v1
	v_cmp_lt_f32_e64 s0, v0, v1
	s_or_b32 s3, s3, exec_lo
	s_and_b32 s4, s2, vcc_lo
	s_delay_alu instid0(VALU_DEP_1) | instid1(SALU_CYCLE_1)
	s_or_b32 s4, s0, s4
	s_delay_alu instid0(SALU_CYCLE_1)
	s_and_saveexec_b32 s0, s4
	s_cbranch_execz .LBB4_135
; %bb.137:                              ;   in Loop: Header=BB4_136 Depth=1
	global_atomic_cmpswap_b32 v3, v2, v[0:1], s[6:7] offset:8 glc
	s_and_not1_b32 s3, s3, exec_lo
	s_waitcnt vmcnt(0)
	v_cmp_eq_u32_e32 vcc_lo, v3, v1
	v_mov_b32_e32 v1, v3
	s_and_b32 s4, vcc_lo, exec_lo
	s_delay_alu instid0(SALU_CYCLE_1)
	s_or_b32 s3, s3, s4
	s_branch .LBB4_135
.LBB4_138:
	s_or_b32 exec_lo, exec_lo, s1
	v_mov_b32_e32 v2, 0
	s_mov_b32 s1, 0
                                        ; implicit-def: $sgpr2
                                        ; implicit-def: $sgpr3
	ds_load_b32 v0, v2 offset:12
	global_load_b32 v1, v2, s[6:7] offset:12 glc
	s_waitcnt lgkmcnt(0)
	v_cmp_eq_f32_e32 vcc_lo, 0, v0
	s_waitcnt vmcnt(0)
	v_cmp_eq_u32_e64 s4, 0x80000000, v1
	s_set_inst_prefetch_distance 0x1
	s_branch .LBB4_140
	.p2align	6
.LBB4_139:                              ;   in Loop: Header=BB4_140 Depth=1
	s_or_b32 exec_lo, exec_lo, s5
	s_delay_alu instid0(SALU_CYCLE_1) | instskip(NEXT) | instid1(SALU_CYCLE_1)
	s_and_b32 s0, exec_lo, s2
	s_or_b32 s1, s0, s1
	s_and_not1_b32 s0, s4, exec_lo
	s_and_b32 s4, s3, exec_lo
	s_delay_alu instid0(SALU_CYCLE_1)
	s_or_b32 s4, s0, s4
	s_and_not1_b32 exec_lo, exec_lo, s1
	s_cbranch_execz .LBB4_142
.LBB4_140:                              ; =>This Inner Loop Header: Depth=1
	v_cmp_lt_f32_e64 s0, v1, v0
	s_delay_alu instid0(VALU_DEP_2) | instskip(SKIP_2) | instid1(VALU_DEP_1)
	s_and_b32 s5, vcc_lo, s4
	s_and_not1_b32 s3, s3, exec_lo
	s_or_b32 s2, s2, exec_lo
	s_or_b32 s0, s0, s5
	s_delay_alu instid0(SALU_CYCLE_1)
	s_and_saveexec_b32 s5, s0
	s_cbranch_execz .LBB4_139
; %bb.141:                              ;   in Loop: Header=BB4_140 Depth=1
	global_atomic_cmpswap_b32 v3, v2, v[0:1], s[6:7] offset:12 glc
	s_and_not1_b32 s3, s3, exec_lo
	s_and_not1_b32 s2, s2, exec_lo
	s_waitcnt vmcnt(0)
	v_cmp_eq_u32_e64 s0, v3, v1
	s_delay_alu instid0(VALU_DEP_1) | instskip(SKIP_1) | instid1(SALU_CYCLE_1)
	v_cndmask_b32_e64 v1, v3, v1, s0
	s_and_b32 s0, s0, exec_lo
	s_or_b32 s2, s2, s0
	s_delay_alu instid0(VALU_DEP_1) | instskip(SKIP_1) | instid1(VALU_DEP_2)
	v_cmp_class_f32_e64 s4, v1, 32
	v_mov_b32_e32 v1, v3
	s_and_b32 s4, s4, exec_lo
	s_delay_alu instid0(SALU_CYCLE_1)
	s_or_b32 s3, s3, s4
                                        ; implicit-def: $sgpr4
	s_branch .LBB4_139
.LBB4_142:
	s_set_inst_prefetch_distance 0x2
	s_nop 0
	s_sendmsg sendmsg(MSG_DEALLOC_VGPRS)
	s_endpgm
	.section	.rodata,"a",@progbits
	.p2align	6, 0x0
	.amdhsa_kernel check_numerics_bf8
		.amdhsa_group_segment_fixed_size 4096
		.amdhsa_private_segment_fixed_size 0
		.amdhsa_kernarg_size 288
		.amdhsa_user_sgpr_count 15
		.amdhsa_user_sgpr_dispatch_ptr 0
		.amdhsa_user_sgpr_queue_ptr 0
		.amdhsa_user_sgpr_kernarg_segment_ptr 1
		.amdhsa_user_sgpr_dispatch_id 0
		.amdhsa_user_sgpr_private_segment_size 0
		.amdhsa_wavefront_size32 1
		.amdhsa_uses_dynamic_stack 0
		.amdhsa_enable_private_segment 0
		.amdhsa_system_sgpr_workgroup_id_x 1
		.amdhsa_system_sgpr_workgroup_id_y 0
		.amdhsa_system_sgpr_workgroup_id_z 0
		.amdhsa_system_sgpr_workgroup_info 0
		.amdhsa_system_vgpr_workitem_id 0
		.amdhsa_next_free_vgpr 21
		.amdhsa_next_free_sgpr 16
		.amdhsa_reserve_vcc 1
		.amdhsa_float_round_mode_32 0
		.amdhsa_float_round_mode_16_64 0
		.amdhsa_float_denorm_mode_32 3
		.amdhsa_float_denorm_mode_16_64 3
		.amdhsa_dx10_clamp 1
		.amdhsa_ieee_mode 1
		.amdhsa_fp16_overflow 0
		.amdhsa_workgroup_processor_mode 1
		.amdhsa_memory_ordered 1
		.amdhsa_forward_progress 0
		.amdhsa_shared_vgpr_count 0
		.amdhsa_exception_fp_ieee_invalid_op 0
		.amdhsa_exception_fp_denorm_src 0
		.amdhsa_exception_fp_ieee_div_zero 0
		.amdhsa_exception_fp_ieee_overflow 0
		.amdhsa_exception_fp_ieee_underflow 0
		.amdhsa_exception_fp_ieee_inexact 0
		.amdhsa_exception_int_div_zero 0
	.end_amdhsa_kernel
	.text
.Lfunc_end4:
	.size	check_numerics_bf8, .Lfunc_end4-check_numerics_bf8
                                        ; -- End function
	.section	.AMDGPU.csdata,"",@progbits
; Kernel info:
; codeLenInByte = 4320
; NumSgprs: 18
; NumVgprs: 21
; ScratchSize: 0
; MemoryBound: 0
; FloatMode: 240
; IeeeMode: 1
; LDSByteSize: 4096 bytes/workgroup (compile time only)
; SGPRBlocks: 2
; VGPRBlocks: 2
; NumSGPRsForWavesPerEU: 18
; NumVGPRsForWavesPerEU: 21
; Occupancy: 16
; WaveLimiterHint : 0
; COMPUTE_PGM_RSRC2:SCRATCH_EN: 0
; COMPUTE_PGM_RSRC2:USER_SGPR: 15
; COMPUTE_PGM_RSRC2:TRAP_HANDLER: 0
; COMPUTE_PGM_RSRC2:TGID_X_EN: 1
; COMPUTE_PGM_RSRC2:TGID_Y_EN: 0
; COMPUTE_PGM_RSRC2:TGID_Z_EN: 0
; COMPUTE_PGM_RSRC2:TIDIG_COMP_CNT: 0
	.text
	.p2alignl 7, 3214868480
	.fill 96, 4, 3214868480
	.type	__hip_cuid_3f9642fe101d9967,@object ; @__hip_cuid_3f9642fe101d9967
	.section	.bss,"aw",@nobits
	.globl	__hip_cuid_3f9642fe101d9967
__hip_cuid_3f9642fe101d9967:
	.byte	0                               ; 0x0
	.size	__hip_cuid_3f9642fe101d9967, 1

	.ident	"AMD clang version 19.0.0git (https://github.com/RadeonOpenCompute/llvm-project roc-6.4.0 25133 c7fe45cf4b819c5991fe208aaa96edf142730f1d)"
	.section	".note.GNU-stack","",@progbits
	.addrsig
	.addrsig_sym __hip_cuid_3f9642fe101d9967
	.amdgpu_metadata
---
amdhsa.kernels:
  - .args:
      - .actual_access:  read_only
        .address_space:  global
        .offset:         0
        .size:           8
        .value_kind:     global_buffer
      - .offset:         8
        .size:           8
        .value_kind:     by_value
      - .address_space:  global
        .offset:         16
        .size:           8
        .value_kind:     global_buffer
      - .offset:         24
        .size:           1
        .value_kind:     by_value
      - .offset:         32
        .size:           4
        .value_kind:     hidden_block_count_x
      - .offset:         36
        .size:           4
        .value_kind:     hidden_block_count_y
      - .offset:         40
        .size:           4
        .value_kind:     hidden_block_count_z
      - .offset:         44
        .size:           2
        .value_kind:     hidden_group_size_x
      - .offset:         46
        .size:           2
        .value_kind:     hidden_group_size_y
      - .offset:         48
        .size:           2
        .value_kind:     hidden_group_size_z
      - .offset:         50
        .size:           2
        .value_kind:     hidden_remainder_x
      - .offset:         52
        .size:           2
        .value_kind:     hidden_remainder_y
      - .offset:         54
        .size:           2
        .value_kind:     hidden_remainder_z
      - .offset:         72
        .size:           8
        .value_kind:     hidden_global_offset_x
      - .offset:         80
        .size:           8
        .value_kind:     hidden_global_offset_y
      - .offset:         88
        .size:           8
        .value_kind:     hidden_global_offset_z
      - .offset:         96
        .size:           2
        .value_kind:     hidden_grid_dims
    .group_segment_fixed_size: 4096
    .kernarg_segment_align: 8
    .kernarg_segment_size: 288
    .language:       OpenCL C
    .language_version:
      - 2
      - 0
    .max_flat_workgroup_size: 1024
    .name:           check_numerics_fp32
    .private_segment_fixed_size: 0
    .sgpr_count:     18
    .sgpr_spill_count: 0
    .symbol:         check_numerics_fp32.kd
    .uniform_work_group_size: 1
    .uses_dynamic_stack: false
    .vgpr_count:     16
    .vgpr_spill_count: 0
    .wavefront_size: 32
    .workgroup_processor_mode: 1
  - .args:
      - .actual_access:  read_only
        .address_space:  global
        .offset:         0
        .size:           8
        .value_kind:     global_buffer
      - .offset:         8
        .size:           8
        .value_kind:     by_value
      - .address_space:  global
        .offset:         16
        .size:           8
        .value_kind:     global_buffer
      - .offset:         24
        .size:           1
        .value_kind:     by_value
      - .offset:         32
        .size:           4
        .value_kind:     hidden_block_count_x
      - .offset:         36
        .size:           4
        .value_kind:     hidden_block_count_y
      - .offset:         40
        .size:           4
        .value_kind:     hidden_block_count_z
      - .offset:         44
        .size:           2
        .value_kind:     hidden_group_size_x
      - .offset:         46
        .size:           2
        .value_kind:     hidden_group_size_y
      - .offset:         48
        .size:           2
        .value_kind:     hidden_group_size_z
      - .offset:         50
        .size:           2
        .value_kind:     hidden_remainder_x
      - .offset:         52
        .size:           2
        .value_kind:     hidden_remainder_y
      - .offset:         54
        .size:           2
        .value_kind:     hidden_remainder_z
      - .offset:         72
        .size:           8
        .value_kind:     hidden_global_offset_x
      - .offset:         80
        .size:           8
        .value_kind:     hidden_global_offset_y
      - .offset:         88
        .size:           8
        .value_kind:     hidden_global_offset_z
      - .offset:         96
        .size:           2
        .value_kind:     hidden_grid_dims
    .group_segment_fixed_size: 4096
    .kernarg_segment_align: 8
    .kernarg_segment_size: 288
    .language:       OpenCL C
    .language_version:
      - 2
      - 0
    .max_flat_workgroup_size: 1024
    .name:           check_numerics_fp16
    .private_segment_fixed_size: 0
    .sgpr_count:     18
    .sgpr_spill_count: 0
    .symbol:         check_numerics_fp16.kd
    .uniform_work_group_size: 1
    .uses_dynamic_stack: false
    .vgpr_count:     16
    .vgpr_spill_count: 0
    .wavefront_size: 32
    .workgroup_processor_mode: 1
  - .args:
      - .actual_access:  read_only
        .address_space:  global
        .offset:         0
        .size:           8
        .value_kind:     global_buffer
      - .offset:         8
        .size:           8
        .value_kind:     by_value
      - .address_space:  global
        .offset:         16
        .size:           8
        .value_kind:     global_buffer
      - .offset:         24
        .size:           1
        .value_kind:     by_value
      - .offset:         32
        .size:           4
        .value_kind:     hidden_block_count_x
      - .offset:         36
        .size:           4
        .value_kind:     hidden_block_count_y
      - .offset:         40
        .size:           4
        .value_kind:     hidden_block_count_z
      - .offset:         44
        .size:           2
        .value_kind:     hidden_group_size_x
      - .offset:         46
        .size:           2
        .value_kind:     hidden_group_size_y
      - .offset:         48
        .size:           2
        .value_kind:     hidden_group_size_z
      - .offset:         50
        .size:           2
        .value_kind:     hidden_remainder_x
      - .offset:         52
        .size:           2
        .value_kind:     hidden_remainder_y
      - .offset:         54
        .size:           2
        .value_kind:     hidden_remainder_z
      - .offset:         72
        .size:           8
        .value_kind:     hidden_global_offset_x
      - .offset:         80
        .size:           8
        .value_kind:     hidden_global_offset_y
      - .offset:         88
        .size:           8
        .value_kind:     hidden_global_offset_z
      - .offset:         96
        .size:           2
        .value_kind:     hidden_grid_dims
    .group_segment_fixed_size: 4096
    .kernarg_segment_align: 8
    .kernarg_segment_size: 288
    .language:       OpenCL C
    .language_version:
      - 2
      - 0
    .max_flat_workgroup_size: 1024
    .name:           check_numerics_bf16
    .private_segment_fixed_size: 0
    .sgpr_count:     18
    .sgpr_spill_count: 0
    .symbol:         check_numerics_bf16.kd
    .uniform_work_group_size: 1
    .uses_dynamic_stack: false
    .vgpr_count:     18
    .vgpr_spill_count: 0
    .wavefront_size: 32
    .workgroup_processor_mode: 1
  - .args:
      - .actual_access:  read_only
        .address_space:  global
        .offset:         0
        .size:           8
        .value_kind:     global_buffer
      - .offset:         8
        .size:           8
        .value_kind:     by_value
      - .address_space:  global
        .offset:         16
        .size:           8
        .value_kind:     global_buffer
      - .offset:         24
        .size:           1
        .value_kind:     by_value
      - .offset:         32
        .size:           4
        .value_kind:     hidden_block_count_x
      - .offset:         36
        .size:           4
        .value_kind:     hidden_block_count_y
      - .offset:         40
        .size:           4
        .value_kind:     hidden_block_count_z
      - .offset:         44
        .size:           2
        .value_kind:     hidden_group_size_x
      - .offset:         46
        .size:           2
        .value_kind:     hidden_group_size_y
      - .offset:         48
        .size:           2
        .value_kind:     hidden_group_size_z
      - .offset:         50
        .size:           2
        .value_kind:     hidden_remainder_x
      - .offset:         52
        .size:           2
        .value_kind:     hidden_remainder_y
      - .offset:         54
        .size:           2
        .value_kind:     hidden_remainder_z
      - .offset:         72
        .size:           8
        .value_kind:     hidden_global_offset_x
      - .offset:         80
        .size:           8
        .value_kind:     hidden_global_offset_y
      - .offset:         88
        .size:           8
        .value_kind:     hidden_global_offset_z
      - .offset:         96
        .size:           2
        .value_kind:     hidden_grid_dims
    .group_segment_fixed_size: 4096
    .kernarg_segment_align: 8
    .kernarg_segment_size: 288
    .language:       OpenCL C
    .language_version:
      - 2
      - 0
    .max_flat_workgroup_size: 1024
    .name:           check_numerics_fp8
    .private_segment_fixed_size: 0
    .sgpr_count:     18
    .sgpr_spill_count: 0
    .symbol:         check_numerics_fp8.kd
    .uniform_work_group_size: 1
    .uses_dynamic_stack: false
    .vgpr_count:     21
    .vgpr_spill_count: 0
    .wavefront_size: 32
    .workgroup_processor_mode: 1
  - .args:
      - .actual_access:  read_only
        .address_space:  global
        .offset:         0
        .size:           8
        .value_kind:     global_buffer
      - .offset:         8
        .size:           8
        .value_kind:     by_value
      - .address_space:  global
        .offset:         16
        .size:           8
        .value_kind:     global_buffer
      - .offset:         24
        .size:           1
        .value_kind:     by_value
      - .offset:         32
        .size:           4
        .value_kind:     hidden_block_count_x
      - .offset:         36
        .size:           4
        .value_kind:     hidden_block_count_y
      - .offset:         40
        .size:           4
        .value_kind:     hidden_block_count_z
      - .offset:         44
        .size:           2
        .value_kind:     hidden_group_size_x
      - .offset:         46
        .size:           2
        .value_kind:     hidden_group_size_y
      - .offset:         48
        .size:           2
        .value_kind:     hidden_group_size_z
      - .offset:         50
        .size:           2
        .value_kind:     hidden_remainder_x
      - .offset:         52
        .size:           2
        .value_kind:     hidden_remainder_y
      - .offset:         54
        .size:           2
        .value_kind:     hidden_remainder_z
      - .offset:         72
        .size:           8
        .value_kind:     hidden_global_offset_x
      - .offset:         80
        .size:           8
        .value_kind:     hidden_global_offset_y
      - .offset:         88
        .size:           8
        .value_kind:     hidden_global_offset_z
      - .offset:         96
        .size:           2
        .value_kind:     hidden_grid_dims
    .group_segment_fixed_size: 4096
    .kernarg_segment_align: 8
    .kernarg_segment_size: 288
    .language:       OpenCL C
    .language_version:
      - 2
      - 0
    .max_flat_workgroup_size: 1024
    .name:           check_numerics_bf8
    .private_segment_fixed_size: 0
    .sgpr_count:     18
    .sgpr_spill_count: 0
    .symbol:         check_numerics_bf8.kd
    .uniform_work_group_size: 1
    .uses_dynamic_stack: false
    .vgpr_count:     21
    .vgpr_spill_count: 0
    .wavefront_size: 32
    .workgroup_processor_mode: 1
amdhsa.target:   amdgcn-amd-amdhsa--gfx1100
amdhsa.version:
  - 1
  - 2
...

	.end_amdgpu_metadata
